;; amdgpu-corpus repo=ROCm/rocFFT kind=compiled arch=gfx1201 opt=O3
	.text
	.amdgcn_target "amdgcn-amd-amdhsa--gfx1201"
	.amdhsa_code_object_version 6
	.protected	fft_rtc_fwd_len1666_factors_17_2_7_7_wgs_119_tpt_119_halfLds_half_ip_CI_unitstride_sbrr_R2C_dirReg ; -- Begin function fft_rtc_fwd_len1666_factors_17_2_7_7_wgs_119_tpt_119_halfLds_half_ip_CI_unitstride_sbrr_R2C_dirReg
	.globl	fft_rtc_fwd_len1666_factors_17_2_7_7_wgs_119_tpt_119_halfLds_half_ip_CI_unitstride_sbrr_R2C_dirReg
	.p2align	8
	.type	fft_rtc_fwd_len1666_factors_17_2_7_7_wgs_119_tpt_119_halfLds_half_ip_CI_unitstride_sbrr_R2C_dirReg,@function
fft_rtc_fwd_len1666_factors_17_2_7_7_wgs_119_tpt_119_halfLds_half_ip_CI_unitstride_sbrr_R2C_dirReg: ; @fft_rtc_fwd_len1666_factors_17_2_7_7_wgs_119_tpt_119_halfLds_half_ip_CI_unitstride_sbrr_R2C_dirReg
; %bb.0:
	s_clause 0x2
	s_load_b128 s[4:7], s[0:1], 0x0
	s_load_b64 s[8:9], s[0:1], 0x50
	s_load_b64 s[10:11], s[0:1], 0x18
	v_mul_u32_u24_e32 v1, 0x227, v0
	v_mov_b32_e32 v3, 0
	s_delay_alu instid0(VALU_DEP_2) | instskip(NEXT) | instid1(VALU_DEP_1)
	v_lshrrev_b32_e32 v1, 16, v1
	v_add_nc_u32_e32 v5, ttmp9, v1
	v_mov_b32_e32 v1, 0
	v_mov_b32_e32 v2, 0
	;; [unrolled: 1-line block ×3, first 2 shown]
	s_wait_kmcnt 0x0
	v_cmp_lt_u64_e64 s2, s[6:7], 2
	s_delay_alu instid0(VALU_DEP_1)
	s_and_b32 vcc_lo, exec_lo, s2
	s_cbranch_vccnz .LBB0_8
; %bb.1:
	s_load_b64 s[2:3], s[0:1], 0x10
	v_mov_b32_e32 v1, 0
	v_mov_b32_e32 v2, 0
	s_add_nc_u64 s[12:13], s[10:11], 8
	s_mov_b64 s[14:15], 1
	s_wait_kmcnt 0x0
	s_add_nc_u64 s[16:17], s[2:3], 8
	s_mov_b32 s3, 0
.LBB0_2:                                ; =>This Inner Loop Header: Depth=1
	s_load_b64 s[18:19], s[16:17], 0x0
                                        ; implicit-def: $vgpr7_vgpr8
	s_mov_b32 s2, exec_lo
	s_wait_kmcnt 0x0
	v_or_b32_e32 v4, s19, v6
	s_delay_alu instid0(VALU_DEP_1)
	v_cmpx_ne_u64_e32 0, v[3:4]
	s_wait_alu 0xfffe
	s_xor_b32 s20, exec_lo, s2
	s_cbranch_execz .LBB0_4
; %bb.3:                                ;   in Loop: Header=BB0_2 Depth=1
	s_cvt_f32_u32 s2, s18
	s_cvt_f32_u32 s21, s19
	s_sub_nc_u64 s[24:25], 0, s[18:19]
	s_wait_alu 0xfffe
	s_delay_alu instid0(SALU_CYCLE_1) | instskip(SKIP_1) | instid1(SALU_CYCLE_2)
	s_fmamk_f32 s2, s21, 0x4f800000, s2
	s_wait_alu 0xfffe
	v_s_rcp_f32 s2, s2
	s_delay_alu instid0(TRANS32_DEP_1) | instskip(SKIP_1) | instid1(SALU_CYCLE_2)
	s_mul_f32 s2, s2, 0x5f7ffffc
	s_wait_alu 0xfffe
	s_mul_f32 s21, s2, 0x2f800000
	s_wait_alu 0xfffe
	s_delay_alu instid0(SALU_CYCLE_2) | instskip(SKIP_1) | instid1(SALU_CYCLE_2)
	s_trunc_f32 s21, s21
	s_wait_alu 0xfffe
	s_fmamk_f32 s2, s21, 0xcf800000, s2
	s_cvt_u32_f32 s23, s21
	s_wait_alu 0xfffe
	s_delay_alu instid0(SALU_CYCLE_1) | instskip(SKIP_1) | instid1(SALU_CYCLE_2)
	s_cvt_u32_f32 s22, s2
	s_wait_alu 0xfffe
	s_mul_u64 s[26:27], s[24:25], s[22:23]
	s_wait_alu 0xfffe
	s_mul_hi_u32 s29, s22, s27
	s_mul_i32 s28, s22, s27
	s_mul_hi_u32 s2, s22, s26
	s_mul_i32 s30, s23, s26
	s_wait_alu 0xfffe
	s_add_nc_u64 s[28:29], s[2:3], s[28:29]
	s_mul_hi_u32 s21, s23, s26
	s_mul_hi_u32 s31, s23, s27
	s_add_co_u32 s2, s28, s30
	s_wait_alu 0xfffe
	s_add_co_ci_u32 s2, s29, s21
	s_mul_i32 s26, s23, s27
	s_add_co_ci_u32 s27, s31, 0
	s_wait_alu 0xfffe
	s_add_nc_u64 s[26:27], s[2:3], s[26:27]
	s_wait_alu 0xfffe
	v_add_co_u32 v4, s2, s22, s26
	s_delay_alu instid0(VALU_DEP_1) | instskip(SKIP_1) | instid1(VALU_DEP_1)
	s_cmp_lg_u32 s2, 0
	s_add_co_ci_u32 s23, s23, s27
	v_readfirstlane_b32 s22, v4
	s_wait_alu 0xfffe
	s_delay_alu instid0(VALU_DEP_1)
	s_mul_u64 s[24:25], s[24:25], s[22:23]
	s_wait_alu 0xfffe
	s_mul_hi_u32 s27, s22, s25
	s_mul_i32 s26, s22, s25
	s_mul_hi_u32 s2, s22, s24
	s_mul_i32 s28, s23, s24
	s_wait_alu 0xfffe
	s_add_nc_u64 s[26:27], s[2:3], s[26:27]
	s_mul_hi_u32 s21, s23, s24
	s_mul_hi_u32 s22, s23, s25
	s_wait_alu 0xfffe
	s_add_co_u32 s2, s26, s28
	s_add_co_ci_u32 s2, s27, s21
	s_mul_i32 s24, s23, s25
	s_add_co_ci_u32 s25, s22, 0
	s_wait_alu 0xfffe
	s_add_nc_u64 s[24:25], s[2:3], s[24:25]
	s_wait_alu 0xfffe
	v_add_co_u32 v4, s2, v4, s24
	s_delay_alu instid0(VALU_DEP_1) | instskip(SKIP_1) | instid1(VALU_DEP_1)
	s_cmp_lg_u32 s2, 0
	s_add_co_ci_u32 s2, s23, s25
	v_mul_hi_u32 v13, v5, v4
	s_wait_alu 0xfffe
	v_mad_co_u64_u32 v[7:8], null, v5, s2, 0
	v_mad_co_u64_u32 v[9:10], null, v6, v4, 0
	;; [unrolled: 1-line block ×3, first 2 shown]
	s_delay_alu instid0(VALU_DEP_3) | instskip(SKIP_1) | instid1(VALU_DEP_4)
	v_add_co_u32 v4, vcc_lo, v13, v7
	s_wait_alu 0xfffd
	v_add_co_ci_u32_e32 v7, vcc_lo, 0, v8, vcc_lo
	s_delay_alu instid0(VALU_DEP_2) | instskip(SKIP_1) | instid1(VALU_DEP_2)
	v_add_co_u32 v4, vcc_lo, v4, v9
	s_wait_alu 0xfffd
	v_add_co_ci_u32_e32 v4, vcc_lo, v7, v10, vcc_lo
	s_wait_alu 0xfffd
	v_add_co_ci_u32_e32 v7, vcc_lo, 0, v12, vcc_lo
	s_delay_alu instid0(VALU_DEP_2) | instskip(SKIP_1) | instid1(VALU_DEP_2)
	v_add_co_u32 v4, vcc_lo, v4, v11
	s_wait_alu 0xfffd
	v_add_co_ci_u32_e32 v9, vcc_lo, 0, v7, vcc_lo
	s_delay_alu instid0(VALU_DEP_2) | instskip(SKIP_1) | instid1(VALU_DEP_3)
	v_mul_lo_u32 v10, s19, v4
	v_mad_co_u64_u32 v[7:8], null, s18, v4, 0
	v_mul_lo_u32 v11, s18, v9
	s_delay_alu instid0(VALU_DEP_2) | instskip(NEXT) | instid1(VALU_DEP_2)
	v_sub_co_u32 v7, vcc_lo, v5, v7
	v_add3_u32 v8, v8, v11, v10
	s_delay_alu instid0(VALU_DEP_1) | instskip(SKIP_1) | instid1(VALU_DEP_1)
	v_sub_nc_u32_e32 v10, v6, v8
	s_wait_alu 0xfffd
	v_subrev_co_ci_u32_e64 v10, s2, s19, v10, vcc_lo
	v_add_co_u32 v11, s2, v4, 2
	s_wait_alu 0xf1ff
	v_add_co_ci_u32_e64 v12, s2, 0, v9, s2
	v_sub_co_u32 v13, s2, v7, s18
	v_sub_co_ci_u32_e32 v8, vcc_lo, v6, v8, vcc_lo
	s_wait_alu 0xf1ff
	v_subrev_co_ci_u32_e64 v10, s2, 0, v10, s2
	s_delay_alu instid0(VALU_DEP_3) | instskip(NEXT) | instid1(VALU_DEP_3)
	v_cmp_le_u32_e32 vcc_lo, s18, v13
	v_cmp_eq_u32_e64 s2, s19, v8
	s_wait_alu 0xfffd
	v_cndmask_b32_e64 v13, 0, -1, vcc_lo
	v_cmp_le_u32_e32 vcc_lo, s19, v10
	s_wait_alu 0xfffd
	v_cndmask_b32_e64 v14, 0, -1, vcc_lo
	v_cmp_le_u32_e32 vcc_lo, s18, v7
	;; [unrolled: 3-line block ×3, first 2 shown]
	s_wait_alu 0xfffd
	v_cndmask_b32_e64 v15, 0, -1, vcc_lo
	v_cmp_eq_u32_e32 vcc_lo, s19, v10
	s_wait_alu 0xf1ff
	s_delay_alu instid0(VALU_DEP_2)
	v_cndmask_b32_e64 v7, v15, v7, s2
	s_wait_alu 0xfffd
	v_cndmask_b32_e32 v10, v14, v13, vcc_lo
	v_add_co_u32 v13, vcc_lo, v4, 1
	s_wait_alu 0xfffd
	v_add_co_ci_u32_e32 v14, vcc_lo, 0, v9, vcc_lo
	s_delay_alu instid0(VALU_DEP_3) | instskip(SKIP_2) | instid1(VALU_DEP_3)
	v_cmp_ne_u32_e32 vcc_lo, 0, v10
	s_wait_alu 0xfffd
	v_cndmask_b32_e32 v10, v13, v11, vcc_lo
	v_cndmask_b32_e32 v8, v14, v12, vcc_lo
	v_cmp_ne_u32_e32 vcc_lo, 0, v7
	s_wait_alu 0xfffd
	s_delay_alu instid0(VALU_DEP_2)
	v_dual_cndmask_b32 v7, v4, v10 :: v_dual_cndmask_b32 v8, v9, v8
.LBB0_4:                                ;   in Loop: Header=BB0_2 Depth=1
	s_wait_alu 0xfffe
	s_and_not1_saveexec_b32 s2, s20
	s_cbranch_execz .LBB0_6
; %bb.5:                                ;   in Loop: Header=BB0_2 Depth=1
	v_cvt_f32_u32_e32 v4, s18
	s_sub_co_i32 s20, 0, s18
	s_delay_alu instid0(VALU_DEP_1) | instskip(NEXT) | instid1(TRANS32_DEP_1)
	v_rcp_iflag_f32_e32 v4, v4
	v_mul_f32_e32 v4, 0x4f7ffffe, v4
	s_delay_alu instid0(VALU_DEP_1) | instskip(SKIP_1) | instid1(VALU_DEP_1)
	v_cvt_u32_f32_e32 v4, v4
	s_wait_alu 0xfffe
	v_mul_lo_u32 v7, s20, v4
	s_delay_alu instid0(VALU_DEP_1) | instskip(NEXT) | instid1(VALU_DEP_1)
	v_mul_hi_u32 v7, v4, v7
	v_add_nc_u32_e32 v4, v4, v7
	s_delay_alu instid0(VALU_DEP_1) | instskip(NEXT) | instid1(VALU_DEP_1)
	v_mul_hi_u32 v4, v5, v4
	v_mul_lo_u32 v7, v4, s18
	v_add_nc_u32_e32 v8, 1, v4
	s_delay_alu instid0(VALU_DEP_2) | instskip(NEXT) | instid1(VALU_DEP_1)
	v_sub_nc_u32_e32 v7, v5, v7
	v_subrev_nc_u32_e32 v9, s18, v7
	v_cmp_le_u32_e32 vcc_lo, s18, v7
	s_wait_alu 0xfffd
	s_delay_alu instid0(VALU_DEP_2) | instskip(NEXT) | instid1(VALU_DEP_1)
	v_dual_cndmask_b32 v7, v7, v9 :: v_dual_cndmask_b32 v4, v4, v8
	v_cmp_le_u32_e32 vcc_lo, s18, v7
	s_delay_alu instid0(VALU_DEP_2) | instskip(SKIP_1) | instid1(VALU_DEP_1)
	v_add_nc_u32_e32 v8, 1, v4
	s_wait_alu 0xfffd
	v_dual_cndmask_b32 v7, v4, v8 :: v_dual_mov_b32 v8, v3
.LBB0_6:                                ;   in Loop: Header=BB0_2 Depth=1
	s_wait_alu 0xfffe
	s_or_b32 exec_lo, exec_lo, s2
	s_load_b64 s[20:21], s[12:13], 0x0
	s_delay_alu instid0(VALU_DEP_1)
	v_mul_lo_u32 v4, v8, s18
	v_mul_lo_u32 v11, v7, s19
	v_mad_co_u64_u32 v[9:10], null, v7, s18, 0
	s_add_nc_u64 s[14:15], s[14:15], 1
	s_add_nc_u64 s[12:13], s[12:13], 8
	s_wait_alu 0xfffe
	v_cmp_ge_u64_e64 s2, s[14:15], s[6:7]
	s_add_nc_u64 s[16:17], s[16:17], 8
	s_delay_alu instid0(VALU_DEP_2) | instskip(NEXT) | instid1(VALU_DEP_3)
	v_add3_u32 v4, v10, v11, v4
	v_sub_co_u32 v5, vcc_lo, v5, v9
	s_wait_alu 0xfffd
	s_delay_alu instid0(VALU_DEP_2) | instskip(SKIP_3) | instid1(VALU_DEP_2)
	v_sub_co_ci_u32_e32 v4, vcc_lo, v6, v4, vcc_lo
	s_and_b32 vcc_lo, exec_lo, s2
	s_wait_kmcnt 0x0
	v_mul_lo_u32 v6, s21, v5
	v_mul_lo_u32 v4, s20, v4
	v_mad_co_u64_u32 v[1:2], null, s20, v5, v[1:2]
	s_delay_alu instid0(VALU_DEP_1)
	v_add3_u32 v2, v6, v2, v4
	s_wait_alu 0xfffe
	s_cbranch_vccnz .LBB0_9
; %bb.7:                                ;   in Loop: Header=BB0_2 Depth=1
	v_dual_mov_b32 v5, v7 :: v_dual_mov_b32 v6, v8
	s_branch .LBB0_2
.LBB0_8:
	v_dual_mov_b32 v8, v6 :: v_dual_mov_b32 v7, v5
.LBB0_9:
	s_lshl_b64 s[2:3], s[6:7], 3
	v_mul_hi_u32 v3, 0x226b903, v0
	s_wait_alu 0xfffe
	s_add_nc_u64 s[2:3], s[10:11], s[2:3]
	s_load_b64 s[2:3], s[2:3], 0x0
	s_load_b64 s[0:1], s[0:1], 0x20
	s_delay_alu instid0(VALU_DEP_1) | instskip(NEXT) | instid1(VALU_DEP_1)
	v_mul_u32_u24_e32 v3, 0x77, v3
	v_sub_nc_u32_e32 v0, v0, v3
	s_delay_alu instid0(VALU_DEP_1)
	v_lshl_add_u32 v20, v0, 2, 0
	s_wait_kmcnt 0x0
	v_mul_lo_u32 v4, s2, v8
	v_mul_lo_u32 v5, s3, v7
	v_mad_co_u64_u32 v[1:2], null, s2, v7, v[1:2]
	v_cmp_gt_u64_e32 vcc_lo, s[0:1], v[7:8]
	s_delay_alu instid0(VALU_DEP_2) | instskip(NEXT) | instid1(VALU_DEP_1)
	v_add3_u32 v2, v5, v2, v4
	v_lshlrev_b64_e32 v[2:3], 2, v[1:2]
	s_and_saveexec_b32 s1, vcc_lo
	s_cbranch_execz .LBB0_11
; %bb.10:
	v_dual_mov_b32 v1, 0 :: v_dual_add_nc_u32 v18, 0x600, v20
	v_add_nc_u32_e32 v19, 0xa00, v20
	v_add_nc_u32_e32 v21, 0xe00, v20
	v_add_nc_u32_e32 v22, 0x1200, v20
	s_delay_alu instid0(VALU_DEP_4) | instskip(SKIP_4) | instid1(VALU_DEP_3)
	v_lshlrev_b64_e32 v[4:5], 2, v[0:1]
	v_add_co_u32 v1, s0, s8, v2
	s_wait_alu 0xf1ff
	v_add_co_ci_u32_e64 v6, s0, s9, v3, s0
	v_add_nc_u32_e32 v23, 0x1600, v20
	v_add_co_u32 v4, s0, v1, v4
	s_wait_alu 0xf1ff
	s_delay_alu instid0(VALU_DEP_3)
	v_add_co_ci_u32_e64 v5, s0, v6, v5, s0
	s_clause 0xd
	global_load_b32 v1, v[4:5], off
	global_load_b32 v6, v[4:5], off offset:476
	global_load_b32 v7, v[4:5], off offset:952
	;; [unrolled: 1-line block ×13, first 2 shown]
	v_add_nc_u32_e32 v5, 0x200, v20
	s_wait_loadcnt 0xc
	ds_store_2addr_b32 v20, v1, v6 offset1:119
	s_wait_loadcnt 0xa
	ds_store_2addr_b32 v5, v7, v8 offset0:110 offset1:229
	s_wait_loadcnt 0x8
	ds_store_2addr_b32 v18, v9, v10 offset0:92 offset1:211
	;; [unrolled: 2-line block ×6, first 2 shown]
.LBB0_11:
	s_wait_alu 0xfffe
	s_or_b32 exec_lo, exec_lo, s1
	v_add_nc_u32_e32 v1, 0x200, v20
	v_add_nc_u32_e32 v6, 0x400, v20
	global_wb scope:SCOPE_SE
	s_wait_dscnt 0x0
	s_barrier_signal -1
	s_barrier_wait -1
	global_inv scope:SCOPE_SE
	ds_load_2addr_b32 v[4:5], v20 offset1:98
	ds_load_2addr_b32 v[18:19], v1 offset0:68 offset1:166
	ds_load_2addr_b32 v[16:17], v6 offset0:136 offset1:234
	v_add_nc_u32_e32 v6, 0x800, v20
	v_add_nc_u32_e32 v7, 0xc00, v20
	;; [unrolled: 1-line block ×5, first 2 shown]
	ds_load_2addr_b32 v[14:15], v6 offset0:76 offset1:174
	ds_load_2addr_b32 v[12:13], v7 offset0:16 offset1:114
	;; [unrolled: 1-line block ×5, first 2 shown]
	ds_load_b32 v43, v20 offset:6272
	s_mov_b32 s1, exec_lo
	global_wb scope:SCOPE_SE
	s_wait_dscnt 0x0
	s_barrier_signal -1
	s_barrier_wait -1
	global_inv scope:SCOPE_SE
	v_cmpx_gt_u32_e32 0x62, v0
	s_cbranch_execz .LBB0_13
; %bb.12:
	v_pk_add_f16 v23, v4, v5
	v_pk_add_f16 v32, v43, v5
	v_pk_add_f16 v22, v5, v43 neg_lo:[0,1] neg_hi:[0,1]
	v_pk_add_f16 v28, v8, v17
	v_pk_add_f16 v24, v17, v8 neg_lo:[0,1] neg_hi:[0,1]
	v_pk_add_f16 v5, v23, v18
	v_pk_add_f16 v33, v7, v18
	;; [unrolled: 1-line block ×3, first 2 shown]
	v_pk_add_f16 v23, v19, v6 neg_lo:[0,1] neg_hi:[0,1]
	v_pk_add_f16 v27, v9, v16
	v_pk_add_f16 v5, v5, v19
	v_pk_add_f16 v19, v16, v9 neg_lo:[0,1] neg_hi:[0,1]
	v_pk_add_f16 v29, v11, v14
	v_lshrrev_b32_e32 v40, 16, v32
	v_pk_add_f16 v30, v10, v15
	v_pk_add_f16 v5, v5, v16
	v_pk_add_f16 v16, v14, v11 neg_lo:[0,1] neg_hi:[0,1]
	v_pk_add_f16 v25, v15, v10 neg_lo:[0,1] neg_hi:[0,1]
	v_lshrrev_b32_e32 v39, 16, v33
	v_mul_f16_e32 v67, 0x2de8, v40
	v_pk_add_f16 v17, v5, v17
	v_lshrrev_b32_e32 v34, 16, v4
	v_pk_add_f16 v18, v18, v7 neg_lo:[0,1] neg_hi:[0,1]
	v_lshrrev_b32_e32 v38, 16, v26
	v_mul_f16_e32 v68, 0xbbdd, v39
	v_pk_add_f16 v14, v17, v14
	v_fmamk_f16 v45, v22, 0x3bf7, v67
	v_pk_add_f16 v31, v13, v12
	v_pk_add_f16 v5, v12, v13 neg_lo:[0,1] neg_hi:[0,1]
	v_lshrrev_b32_e32 v37, 16, v27
	v_pk_add_f16 v15, v14, v15
	v_mul_f16_e32 v57, 0xb461, v38
	v_add_f16_e32 v45, v34, v45
	v_lshrrev_b32_e32 v36, 16, v28
	v_mul_f16_e32 v61, 0x3b76, v37
	v_pk_add_f16 v44, v15, v12
	v_lshrrev_b32_e32 v35, 16, v29
	v_lshrrev_b32_e32 v42, 16, v22
	v_mul_f16_e32 v60, 0x3722, v36
	v_lshrrev_b32_e32 v17, 16, v30
	v_pk_add_f16 v13, v44, v13
	v_fmamk_f16 v44, v18, 0x31e1, v68
	v_lshrrev_b32_e32 v41, 16, v18
	v_mul_f16_e32 v54, 0xbacd, v35
	v_mul_f16_e32 v63, 0xbbf7, v42
	v_pk_add_f16 v10, v13, v10
	v_fmamk_f16 v13, v23, 0xbbb2, v57
	v_add_f16_e32 v44, v44, v45
	v_lshrrev_b32_e32 v14, 16, v31
	v_lshrrev_b32_e32 v15, 16, v23
	v_pk_add_f16 v10, v10, v11
	v_fmamk_f16 v11, v19, 0xb5c8, v61
	v_add_f16_e32 v13, v13, v44
	v_mul_f16_e32 v53, 0xb8d2, v17
	v_mul_f16_e32 v62, 0xb1e1, v41
	v_pk_add_f16 v8, v10, v8
	v_fmamk_f16 v10, v24, 0x3b29, v60
	v_add_f16_e32 v11, v11, v13
	v_fmamk_f16 v13, v32, 0x2de8, v63
	v_lshrrev_b32_e32 v12, 16, v19
	v_pk_add_f16 v8, v8, v9
	v_fmamk_f16 v9, v16, 0x3836, v54
	v_add_f16_e32 v10, v10, v11
	v_mul_f16_e32 v51, 0x39e9, v14
	v_mul_f16_e32 v58, 0x3bb2, v15
	v_pk_add_f16 v6, v8, v6
	v_fmamk_f16 v8, v25, 0xba62, v53
	v_fmamk_f16 v11, v33, 0xbbdd, v62
	v_add_f16_e32 v13, v4, v13
	v_add_f16_e32 v9, v9, v10
	v_pk_add_f16 v6, v6, v7
	v_mul_f16_e32 v59, 0x35c8, v12
	v_fmamk_f16 v7, v26, 0xb461, v58
	v_add_f16_e32 v10, v11, v13
	v_add_f16_e32 v8, v8, v9
	v_fmamk_f16 v9, v5, 0xb964, v51
	v_lshrrev_b32_e32 v45, 16, v24
	v_mul_f16_e32 v52, 0xb461, v40
	v_add_f16_e32 v10, v7, v10
	v_fmamk_f16 v11, v27, 0x3b76, v59
	v_add_f16_e32 v7, v9, v8
	v_mul_f16_e32 v64, 0xbb29, v45
	v_lshrrev_b32_e32 v13, 16, v16
	v_fmamk_f16 v9, v22, 0x3bb2, v52
	v_mul_f16_e32 v56, 0xbacd, v39
	v_pk_add_f16 v6, v6, v43
	v_add_f16_e32 v8, v11, v10
	v_fmamk_f16 v10, v28, 0x3722, v64
	v_mul_f16_e32 v65, 0xb836, v13
	v_lshrrev_b32_e32 v43, 16, v25
	v_add_f16_e32 v9, v34, v9
	v_fmamk_f16 v11, v18, 0xb836, v56
	v_mul_f16_e32 v69, 0x39e9, v38
	v_add_f16_e32 v8, v10, v8
	v_fmamk_f16 v10, v29, 0xbacd, v65
	v_mul_f16_e32 v66, 0x3a62, v43
	;; [unrolled: 3-line block ×3, first 2 shown]
	v_add_f16_e32 v8, v10, v8
	v_fmamk_f16 v10, v30, 0xb8d2, v66
	v_lshrrev_b32_e32 v44, 16, v5
	v_add_f16_e32 v9, v11, v9
	v_fmamk_f16 v11, v19, 0x3b29, v70
	v_mul_f16_e32 v71, 0xbbdd, v36
	v_mul_f16_e32 v72, 0xbbb2, v42
	v_add_f16_e32 v8, v10, v8
	v_mul_f16_e32 v55, 0x3964, v44
	v_add_f16_e32 v9, v11, v9
	v_fmamk_f16 v10, v24, 0x31e1, v71
	v_mul_f16_e32 v73, 0x2de8, v35
	v_fmamk_f16 v46, v32, 0xb461, v72
	v_mul_f16_e32 v74, 0x3836, v41
	v_fmamk_f16 v11, v31, 0x39e9, v55
	v_add_f16_e32 v9, v10, v9
	v_fmamk_f16 v10, v16, 0xbbf7, v73
	v_mul_f16_e32 v75, 0x3b76, v17
	v_add_f16_e32 v46, v4, v46
	v_fmamk_f16 v47, v33, 0xbacd, v74
	v_mul_f16_e32 v76, 0x3964, v15
	v_add_f16_e32 v9, v10, v9
	v_fmamk_f16 v10, v25, 0x35c8, v75
	v_add_f16_e32 v8, v11, v8
	v_add_f16_e32 v11, v47, v46
	v_fmamk_f16 v46, v26, 0x39e9, v76
	v_mul_f16_e32 v49, 0xb8d2, v40
	v_mul_f16_e32 v77, 0xbb29, v12
	v_add_f16_e32 v9, v10, v9
	v_mul_f16_e32 v50, 0xb461, v39
	v_add_f16_e32 v10, v46, v11
	v_fmamk_f16 v11, v22, 0x3a62, v49
	v_fmamk_f16 v46, v27, 0x3722, v77
	v_mul_f16_e32 v79, 0xb1e1, v45
	v_fmamk_f16 v48, v18, 0xbbb2, v50
	v_mul_f16_e32 v80, 0x3b76, v38
	v_add_f16_e32 v11, v34, v11
	v_add_f16_e32 v10, v46, v10
	v_fmamk_f16 v46, v28, 0xbbdd, v79
	v_mul_f16_e32 v81, 0x3bf7, v13
	v_mul_f16_e32 v82, 0xbacd, v37
	v_add_f16_e32 v11, v48, v11
	v_fmamk_f16 v48, v23, 0x35c8, v80
	v_mul_f16_e32 v78, 0xb8d2, v14
	v_add_f16_e32 v10, v46, v10
	v_fmamk_f16 v46, v29, 0x2de8, v81
	;; [unrolled: 3-line block ×3, first 2 shown]
	v_mul_f16_e32 v84, 0x2de8, v36
	v_fmamk_f16 v47, v5, 0x3a62, v78
	v_add_f16_e32 v10, v46, v10
	v_fmamk_f16 v46, v30, 0x3b76, v83
	v_mul_f16_e32 v85, 0xba62, v42
	v_add_f16_e32 v11, v48, v11
	v_fmamk_f16 v48, v24, 0xbbf7, v84
	v_mul_f16_e32 v86, 0x39e9, v35
	v_add_f16_e32 v9, v47, v9
	v_fmamk_f16 v47, v32, 0xb8d2, v85
	v_add_f16_e32 v10, v46, v10
	v_add_f16_e32 v11, v48, v11
	v_mul_f16_e32 v87, 0x3bb2, v41
	v_fmamk_f16 v46, v16, 0x3964, v86
	v_mul_f16_e32 v89, 0xbbdd, v17
	v_add_f16_e32 v47, v4, v47
	v_mul_f16_e32 v88, 0xba62, v44
	v_fmamk_f16 v48, v33, 0xb461, v87
	v_mul_f16_e32 v90, 0xb5c8, v15
	v_add_f16_e32 v11, v46, v11
	v_fmamk_f16 v91, v25, 0x31e1, v89
	v_fmamk_f16 v46, v31, 0xb8d2, v88
	v_add_f16_e32 v47, v48, v47
	v_fmamk_f16 v48, v26, 0x3b76, v90
	v_mul_f16_e32 v92, 0xb836, v12
	v_add_f16_e32 v11, v91, v11
	v_mul_f16_e32 v91, 0xbacd, v40
	v_add_f16_e32 v10, v46, v10
	v_add_f16_e32 v46, v48, v47
	v_fmamk_f16 v47, v27, 0xbacd, v92
	v_mul_f16_e32 v93, 0x3bf7, v45
	v_fmamk_f16 v48, v22, 0x3836, v91
	v_mul_f16_e32 v95, 0x3722, v39
	v_mul_f16_e32 v94, 0x3722, v14
	v_add_f16_e32 v46, v47, v46
	v_fmamk_f16 v47, v28, 0x2de8, v93
	v_mul_f16_e32 v96, 0xb964, v13
	v_add_f16_e32 v48, v34, v48
	v_fmamk_f16 v97, v18, 0xbb29, v95
	;; [unrolled: 3-line block ×4, first 2 shown]
	v_mul_f16_e32 v100, 0xb8d2, v37
	v_fmamk_f16 v101, v5, 0xbb29, v94
	v_add_f16_e32 v46, v47, v46
	v_fmamk_f16 v47, v30, 0xbbdd, v99
	v_add_f16_e32 v48, v97, v48
	v_fmamk_f16 v97, v19, 0xba62, v100
	v_mul_f16_e32 v102, 0x3b76, v36
	v_add_f16_e32 v11, v101, v11
	v_mul_f16_e32 v101, 0xb836, v42
	v_add_f16_e32 v46, v47, v46
	v_add_f16_e32 v47, v97, v48
	v_fmamk_f16 v48, v24, 0x35c8, v102
	v_mul_f16_e32 v97, 0xbbdd, v35
	v_fmamk_f16 v104, v32, 0xbacd, v101
	v_mul_f16_e32 v105, 0x3b29, v41
	v_mul_f16_e32 v106, 0x39e9, v17
	v_add_f16_e32 v47, v48, v47
	v_fmamk_f16 v48, v16, 0x31e1, v97
	v_add_f16_e32 v104, v4, v104
	v_fmamk_f16 v107, v33, 0x3722, v105
	v_mul_f16_e32 v108, 0xbbf7, v15
	v_mul_f16_e32 v110, 0x3a62, v12
	v_add_f16_e32 v47, v48, v47
	v_fmamk_f16 v48, v25, 0xb964, v106
	v_add_f16_e32 v104, v107, v104
	v_fmamk_f16 v107, v26, 0x2de8, v108
	v_fmac_f16_e32 v91, 0xb836, v22
	v_fmac_f16_e32 v95, 0x3b29, v18
	v_add_f16_e32 v47, v48, v47
	v_mul_f16_e32 v111, 0xb1e1, v13
	v_add_f16_e32 v48, v107, v104
	v_fmamk_f16 v104, v27, 0xb8d2, v110
	v_mul_f16_e32 v107, 0xb5c8, v45
	v_add_f16_e32 v91, v34, v91
	v_fmac_f16_e32 v98, 0xbbf7, v23
	v_fmac_f16_e32 v100, 0x3a62, v19
	v_add_f16_e32 v48, v104, v48
	v_fmamk_f16 v104, v28, 0x3b76, v107
	v_add_f16_e32 v91, v95, v91
	v_fmamk_f16 v95, v29, 0xbbdd, v111
	v_fma_f16 v101, v32, 0xbacd, -v101
	v_mul_f16_e32 v103, 0x3b29, v44
	v_add_f16_e32 v48, v104, v48
	v_mul_f16_e32 v104, 0x3964, v43
	v_add_f16_e32 v91, v98, v91
	v_mul_f16_e32 v98, 0xbbb2, v44
	v_fmac_f16_e32 v102, 0xb5c8, v24
	v_add_f16_e32 v48, v95, v48
	v_fmamk_f16 v95, v30, 0x39e9, v104
	v_add_f16_e32 v91, v100, v91
	v_add_f16_e32 v100, v4, v101
	v_fma_f16 v101, v33, 0x3722, -v105
	v_fmamk_f16 v109, v31, 0x3722, v103
	v_add_f16_e32 v48, v95, v48
	v_fmamk_f16 v95, v31, 0xb461, v98
	v_add_f16_e32 v91, v102, v91
	v_fmac_f16_e32 v97, 0xb1e1, v16
	v_fmac_f16_e32 v49, 0xba62, v22
	v_add_f16_e32 v46, v109, v46
	v_add_f16_e32 v48, v95, v48
	;; [unrolled: 1-line block ×3, first 2 shown]
	v_fma_f16 v100, v26, 0x2de8, -v108
	v_mul_f16_e32 v109, 0xb461, v14
	v_add_f16_e32 v91, v97, v91
	v_fmac_f16_e32 v106, 0x3964, v25
	v_add_f16_e32 v49, v34, v49
	v_fmac_f16_e32 v50, 0x3bb2, v18
	v_add_f16_e32 v95, v100, v95
	v_fma_f16 v97, v27, 0xb8d2, -v110
	v_fmamk_f16 v112, v5, 0x3bb2, v109
	v_add_f16_e32 v91, v106, v91
	v_fmac_f16_e32 v109, 0xbbb2, v5
	v_add_f16_e32 v50, v50, v49
	v_fmac_f16_e32 v80, 0xb5c8, v23
	v_add_f16_e32 v95, v97, v95
	v_fma_f16 v97, v28, 0x3b76, -v107
	v_fma_f16 v85, v32, 0xb8d2, -v85
	v_add_f16_e32 v49, v109, v91
	v_add_f16_e32 v50, v80, v50
	v_fmac_f16_e32 v82, 0xb836, v19
	v_add_f16_e32 v80, v97, v95
	v_fma_f16 v91, v29, 0xbbdd, -v111
	v_add_f16_e32 v85, v4, v85
	v_fma_f16 v87, v33, 0xb461, -v87
	v_add_f16_e32 v50, v82, v50
	v_fmac_f16_e32 v84, 0x3bf7, v24
	v_add_f16_e32 v80, v91, v80
	v_fma_f16 v82, v30, 0x39e9, -v104
	v_add_f16_e32 v85, v87, v85
	v_fma_f16 v87, v26, 0x3b76, -v90
	;; [unrolled: 6-line block ×3, first 2 shown]
	v_add_f16_e32 v86, v86, v50
	v_fmac_f16_e32 v52, 0xbbb2, v22
	v_add_f16_e32 v50, v82, v80
	v_fma_f16 v82, v28, 0x2de8, -v93
	v_add_f16_e32 v80, v85, v84
	v_fmac_f16_e32 v56, 0x3836, v18
	v_add_f16_e32 v85, v34, v52
	v_fma_f16 v72, v32, 0xb461, -v72
	v_fmac_f16_e32 v69, 0x3964, v23
	v_add_f16_e32 v80, v82, v80
	v_fma_f16 v82, v29, 0x39e9, -v96
	v_add_f16_e32 v56, v56, v85
	v_add_f16_e32 v72, v4, v72
	v_fma_f16 v74, v33, 0xbacd, -v74
	v_fmac_f16_e32 v70, 0xbb29, v19
	v_add_f16_e32 v80, v82, v80
	v_fma_f16 v82, v30, 0xbbdd, -v99
	v_add_f16_e32 v56, v69, v56
	;; [unrolled: 6-line block ×3, first 2 shown]
	v_fmac_f16_e32 v67, 0xbbf7, v22
	v_fmac_f16_e32 v68, 0xb1e1, v18
	v_fma_f16 v63, v32, 0x2de8, -v63
	v_add_f16_e32 v56, v80, v69
	v_add_f16_e32 v69, v74, v72
	v_fma_f16 v72, v27, 0x3722, -v77
	v_add_f16_e32 v70, v71, v70
	v_add_f16_e32 v67, v34, v67
	v_fma_f16 v71, v28, 0xbbdd, -v79
	v_fmac_f16_e32 v57, 0x3bb2, v23
	v_add_f16_e32 v69, v72, v69
	v_add_f16_e32 v63, v4, v63
	;; [unrolled: 1-line block ×3, first 2 shown]
	v_fma_f16 v62, v33, 0xbbdd, -v62
	v_fmac_f16_e32 v61, 0x35c8, v19
	v_add_f16_e32 v68, v71, v69
	v_fma_f16 v69, v29, 0x2de8, -v81
	v_add_f16_e32 v67, v57, v67
	v_add_f16_e32 v62, v62, v63
	v_fma_f16 v58, v26, 0xb461, -v58
	v_fmac_f16_e32 v60, 0xbb29, v24
	v_add_f16_e32 v68, v69, v68
	v_fma_f16 v69, v30, 0x3b76, -v83
	v_add_f16_e32 v61, v61, v67
	v_add_f16_e32 v58, v58, v62
	;; [unrolled: 6-line block ×3, first 2 shown]
	v_fma_f16 v59, v28, 0x3722, -v64
	v_fmac_f16_e32 v73, 0x3bf7, v16
	v_add_f16_e32 v60, v68, v67
	v_mul_f16_e32 v67, 0xbb29, v22
	v_add_f16_e32 v54, v54, v61
	v_fmac_f16_e32 v53, 0x3a62, v25
	v_mul_f16_e32 v63, 0xba62, v18
	v_add_f16_e32 v58, v59, v58
	v_fmamk_f16 v61, v40, 0x3722, v67
	v_fma_f16 v59, v29, 0xbacd, -v65
	v_add_f16_e32 v70, v73, v70
	v_fmac_f16_e32 v75, 0xb5c8, v25
	v_add_f16_e32 v53, v53, v54
	v_add_f16_e32 v54, v34, v61
	v_fmamk_f16 v61, v39, 0xb8d2, v63
	v_mul_f16_e32 v62, 0x31e1, v23
	v_add_f16_e32 v58, v59, v58
	v_fma_f16 v59, v30, 0xb8d2, -v66
	v_mul_f16_e32 v65, 0xbb29, v42
	v_add_f16_e32 v70, v75, v70
	v_fmac_f16_e32 v78, 0xba62, v5
	v_fmac_f16_e32 v51, 0x3964, v5
	v_add_f16_e32 v54, v61, v54
	v_fmamk_f16 v61, v38, 0xbbdd, v62
	v_mul_f16_e32 v64, 0x3bb2, v19
	v_add_f16_e32 v58, v59, v58
	v_fma_f16 v59, v32, 0x3722, -v65
	v_mul_f16_e32 v68, 0xba62, v41
	v_add_f16_e32 v57, v78, v70
	v_add_f16_e32 v51, v51, v53
	;; [unrolled: 1-line block ×3, first 2 shown]
	v_fmamk_f16 v54, v37, 0xb461, v64
	v_mul_f16_e32 v61, 0x3964, v24
	v_add_f16_e32 v59, v4, v59
	v_fma_f16 v70, v33, 0xb8d2, -v68
	v_mul_f16_e32 v71, 0x31e1, v15
	v_mul_f16_e32 v72, 0xb964, v22
	v_add_f16_e32 v53, v54, v53
	v_fmamk_f16 v54, v36, 0x39e9, v61
	v_mul_f16_e32 v66, 0xb5c8, v16
	v_fma_f16 v55, v31, 0x39e9, -v55
	v_add_f16_e32 v59, v70, v59
	v_fmamk_f16 v70, v40, 0x39e9, v72
	v_mul_f16_e32 v73, 0xbbf7, v18
	v_fma_f16 v74, v26, 0xbbdd, -v71
	v_mul_f16_e32 v75, 0x3bb2, v12
	v_add_f16_e32 v53, v54, v53
	v_fmamk_f16 v54, v35, 0x3b76, v66
	v_mul_f16_e32 v69, 0xbbf7, v25
	v_add_f16_e32 v55, v55, v58
	v_add_f16_e32 v58, v34, v70
	v_fmamk_f16 v70, v39, 0x2de8, v73
	v_mul_f16_e32 v76, 0xba62, v23
	v_add_f16_e32 v59, v74, v59
	v_fma_f16 v74, v27, 0xb461, -v75
	v_mul_f16_e32 v77, 0x3964, v45
	v_add_f16_e32 v53, v54, v53
	v_fmamk_f16 v54, v17, 0x2de8, v69
	v_add_f16_e32 v58, v70, v58
	v_fmamk_f16 v70, v38, 0xb8d2, v76
	v_mul_f16_e32 v78, 0xb1e1, v19
	v_add_f16_e32 v59, v74, v59
	v_fma_f16 v74, v28, 0x39e9, -v77
	v_mul_f16_e32 v79, 0xb5c8, v13
	v_add_f16_e32 v58, v70, v58
	v_fmamk_f16 v70, v37, 0xbbdd, v78
	v_mul_f16_e32 v80, 0x3836, v24
	v_add_f16_e32 v53, v54, v53
	v_add_f16_e32 v54, v74, v59
	v_fma_f16 v59, v29, 0x3b76, -v79
	v_fmac_f16_e32 v89, 0xb1e1, v25
	v_add_f16_e32 v58, v70, v58
	v_fmamk_f16 v70, v36, 0xbacd, v80
	v_mul_f16_e32 v74, 0x3bb2, v16
	v_add_f16_e32 v54, v59, v54
	v_pk_mul_f16 v59, 0x3b7639e9, v32
	v_add_f16_e32 v84, v89, v86
	v_add_f16_e32 v58, v70, v58
	v_fmamk_f16 v70, v35, 0xb461, v74
	v_pk_mul_f16 v85, 0x39e92de8, v33
	v_pk_fma_f16 v86, 0xb964b5c8, v22, v59 op_sel:[0,0,1] op_sel_hi:[1,1,0]
	v_pk_fma_f16 v59, 0xb964b5c8, v22, v59 op_sel:[0,0,1] op_sel_hi:[1,1,0] neg_lo:[0,1,0] neg_hi:[0,1,0]
	v_fmac_f16_e32 v94, 0x3b29, v5
	v_add_f16_e32 v58, v70, v58
	v_pk_fma_f16 v70, 0xbbf7b964, v18, v85 op_sel:[0,0,1] op_sel_hi:[1,1,0]
	v_pk_fma_f16 v85, 0xbbf7b964, v18, v85 op_sel:[0,0,1] op_sel_hi:[1,1,0] neg_lo:[0,1,0] neg_hi:[0,1,0]
	v_bfi_b32 v89, 0xffff, v86, v59
	v_pk_mul_f16 v90, 0x3722b8d2, v26
	v_add_f16_e32 v52, v94, v84
	v_mul_f16_e32 v81, 0xbacd, v14
	v_mul_f16_e32 v82, 0xbbf7, v43
	;; [unrolled: 1-line block ×3, first 2 shown]
	v_pk_add_f16 v89, v4, v89 op_sel:[1,0] op_sel_hi:[0,1]
	v_bfi_b32 v93, 0xffff, v70, v85
	v_pk_fma_f16 v94, 0xba62bb29, v23, v90 op_sel:[0,0,1] op_sel_hi:[1,1,0]
	v_pk_fma_f16 v90, 0xba62bb29, v23, v90 op_sel:[0,0,1] op_sel_hi:[1,1,0] neg_lo:[0,1,0] neg_hi:[0,1,0]
	v_pk_mul_f16 v95, 0x2de8bbdd, v27
	v_fmac_f16_e32 v65, 0x3722, v32
	v_fma_f16 v84, v30, 0x2de8, -v82
	v_mul_f16_e32 v87, 0xb836, v44
	v_fmamk_f16 v88, v5, 0xb836, v81
	v_fmamk_f16 v91, v17, 0x3722, v83
	v_pk_add_f16 v89, v93, v89
	v_bfi_b32 v93, 0xffff, v94, v90
	v_pk_fma_f16 v96, 0xb1e1bbf7, v19, v95 op_sel:[0,0,1] op_sel_hi:[1,1,0]
	v_pk_fma_f16 v95, 0xb1e1bbf7, v19, v95 op_sel:[0,0,1] op_sel_hi:[1,1,0] neg_lo:[0,1,0] neg_hi:[0,1,0]
	v_pk_mul_f16 v97, 0xb461bacd, v28
	v_fma_f16 v67, v40, 0x3722, -v67
	v_add_f16_e32 v65, v4, v65
	v_fmac_f16_e32 v68, 0xb8d2, v33
	v_fma_f16 v40, v40, 0x39e9, -v72
	v_add_f16_e32 v54, v84, v54
	v_fma_f16 v84, v31, 0xbacd, -v87
	v_add_f16_e32 v53, v88, v53
	v_add_f16_e32 v58, v91, v58
	v_pk_add_f16 v88, v93, v89
	v_bfi_b32 v89, 0xffff, v96, v95
	v_pk_fma_f16 v91, 0x3836bbb2, v24, v97 op_sel:[0,0,1] op_sel_hi:[1,1,0]
	v_pk_fma_f16 v93, 0x3836bbb2, v24, v97 op_sel:[0,0,1] op_sel_hi:[1,1,0] neg_lo:[0,1,0] neg_hi:[0,1,0]
	v_add_f16_e32 v67, v34, v67
	v_fma_f16 v63, v39, 0xb8d2, -v63
	v_add_f16_e32 v65, v68, v65
	v_fmac_f16_e32 v71, 0xbbdd, v26
	v_fma_f16 v39, v39, 0x2de8, -v73
	v_add_f16_e32 v40, v34, v40
	v_add_f16_e32 v54, v84, v54
	v_pk_add_f16 v84, v89, v88
	v_bfi_b32 v88, 0xffff, v91, v93
	v_mul_f16_e32 v42, 0xb5c8, v42
	v_add_f16_e32 v63, v63, v67
	v_fma_f16 v62, v38, 0xbbdd, -v62
	v_add_f16_e32 v65, v71, v65
	v_fmac_f16_e32 v75, 0xb461, v27
	v_add_f16_e32 v39, v39, v40
	v_fma_f16 v38, v38, 0xb8d2, -v76
	v_add_f16_e32 v34, v34, v59
	v_pk_add_f16 v84, v88, v84
	v_fma_f16 v88, v32, 0x3b76, -v42
	v_mul_f16_e32 v41, 0xb964, v41
	v_add_f16_e32 v62, v62, v63
	v_fma_f16 v63, v37, 0xb461, -v64
	v_add_f16_e32 v64, v75, v65
	v_fmac_f16_e32 v77, 0x39e9, v28
	v_add_f16_e32 v38, v38, v39
	v_fmac_f16_e32 v42, 0x3b76, v32
	v_fma_f16 v37, v37, 0xbbdd, -v78
	v_add_f16_e32 v34, v85, v34
	v_pk_mul_f16 v98, 0xb8d2b461, v29
	v_add_f16_e32 v88, v4, v88
	v_fma_f16 v102, v33, 0x39e9, -v41
	v_mul_f16_e32 v15, 0xbb29, v15
	v_add_f16_e32 v62, v63, v62
	v_fma_f16 v61, v36, 0x39e9, -v61
	v_add_f16_e32 v63, v77, v64
	v_fmac_f16_e32 v79, 0x3b76, v29
	v_add_f16_e32 v42, v4, v42
	v_fmac_f16_e32 v41, 0x39e9, v33
	v_add_f16_e32 v37, v37, v38
	v_fma_f16 v36, v36, 0xbacd, -v80
	v_pk_add_f16 v38, v4, v86 op_sel:[1,0] op_sel_hi:[0,1]
	v_add_f16_e32 v34, v90, v34
	v_mul_f16_e32 v92, 0x35c8, v5
	v_pk_fma_f16 v89, 0x3bb2ba62, v16, v98 op_sel:[0,0,1] op_sel_hi:[1,1,0]
	v_pk_fma_f16 v98, 0x3bb2ba62, v16, v98 op_sel:[0,0,1] op_sel_hi:[1,1,0] neg_lo:[0,1,0] neg_hi:[0,1,0]
	v_add_f16_e32 v88, v102, v88
	v_fma_f16 v102, v26, 0x3722, -v15
	v_mul_f16_e32 v12, 0xbbf7, v12
	v_add_f16_e32 v61, v61, v62
	v_add_f16_e32 v62, v79, v63
	v_fma_f16 v63, v35, 0x3b76, -v66
	v_add_f16_e32 v41, v41, v42
	v_fmac_f16_e32 v15, 0x3722, v26
	v_add_f16_e32 v36, v36, v37
	v_fma_f16 v35, v35, 0xb461, -v74
	v_pk_add_f16 v37, v70, v38
	v_add_f16_e32 v34, v95, v34
	v_fmamk_f16 v97, v14, 0x3b76, v92
	v_pk_mul_f16 v99, 0xbacd3722, v30
	v_bfi_b32 v100, 0xffff, v89, v98
	v_add_f16_e32 v88, v102, v88
	v_fma_f16 v102, v27, 0x2de8, -v12
	v_mul_f16_e32 v45, 0xbbb2, v45
	v_add_f16_e32 v40, v63, v61
	v_fma_f16 v63, v17, 0x2de8, -v69
	v_add_f16_e32 v15, v15, v41
	v_fmac_f16_e32 v12, 0x2de8, v27
	v_add_f16_e32 v35, v35, v36
	v_fma_f16 v17, v17, 0x3722, -v83
	v_pk_add_f16 v36, v94, v37
	v_add_f16_e32 v34, v93, v34
	v_pk_fma_f16 v101, 0x3b29b836, v25, v99 op_sel:[0,0,1] op_sel_hi:[1,1,0]
	v_pk_fma_f16 v99, 0x3b29b836, v25, v99 op_sel:[0,0,1] op_sel_hi:[1,1,0] neg_lo:[0,1,0] neg_hi:[0,1,0]
	v_pk_add_f16 v84, v100, v84
	v_pk_mul_f16 v100, 0xbbdd3b76, v31
	v_add_f16_e32 v58, v97, v58
	v_fma_f16 v97, v28, 0xb461, -v45
	v_mul_f16_e32 v13, 0xba62, v13
	v_add_f16_e32 v12, v12, v15
	v_fmac_f16_e32 v45, 0xb461, v28
	v_add_f16_e32 v15, v17, v35
	v_fma_f16 v14, v14, 0x3b76, -v92
	v_pk_add_f16 v17, v96, v36
	v_add_f16_e32 v34, v98, v34
	v_pk_fma_f16 v105, 0x35c8b1e1, v5, v100 op_sel:[0,0,1] op_sel_hi:[1,1,0] neg_lo:[0,1,0] neg_hi:[0,1,0]
	v_fma_f16 v68, v29, 0xb8d2, -v13
	v_add_f16_e32 v12, v45, v12
	v_fmac_f16_e32 v13, 0xb8d2, v29
	v_add_f16_e32 v14, v14, v15
	v_pk_add_f16 v15, v91, v17
	v_add_f16_e32 v17, v99, v34
	v_pk_mul_f16 v32, 0xbbdd, v32 op_sel_hi:[0,1]
	v_add_f16_e32 v12, v13, v12
	v_pk_mul_f16 v33, 0x3b76, v33 op_sel_hi:[0,1]
	v_pk_add_f16 v13, v89, v15
	v_add_f16_e32 v15, v105, v17
	v_pk_fma_f16 v17, 0xb1e1, v22, v32 op_sel:[0,0,1] op_sel_hi:[0,1,0] neg_lo:[0,1,0] neg_hi:[0,1,0]
	v_pk_fma_f16 v22, 0xb1e1, v22, v32 op_sel:[0,0,1] op_sel_hi:[0,1,0]
	v_pk_fma_f16 v32, 0x35c8, v18, v33 op_sel:[0,0,1] op_sel_hi:[0,1,0] neg_lo:[0,1,0] neg_hi:[0,1,0]
	v_pk_mul_f16 v26, 0xbacd, v26 op_sel_hi:[0,1]
	v_pk_fma_f16 v18, 0x35c8, v18, v33 op_sel:[0,0,1] op_sel_hi:[0,1,0]
	v_pk_add_f16 v17, v4, v17 op_sel:[1,0] op_sel_hi:[0,1]
	v_pk_add_f16 v4, v4, v22 op_sel:[1,0] op_sel_hi:[0,1]
	v_pk_mul_f16 v27, 0x39e9, v27 op_sel_hi:[0,1]
	v_pk_fma_f16 v22, 0xb836, v23, v26 op_sel:[0,0,1] op_sel_hi:[0,1,0] neg_lo:[0,1,0] neg_hi:[0,1,0]
	v_add_f16_e32 v88, v102, v88
	v_pk_add_f16 v17, v32, v17
	v_pk_add_f16 v4, v18, v4
	v_pk_fma_f16 v18, 0xb836, v23, v26 op_sel:[0,0,1] op_sel_hi:[0,1,0]
	v_pk_mul_f16 v26, 0xb8d2, v28 op_sel_hi:[0,1]
	v_add_f16_e32 v88, v97, v88
	v_pk_add_f16 v17, v22, v17
	v_pk_fma_f16 v22, 0x3964, v19, v27 op_sel:[0,0,1] op_sel_hi:[0,1,0] neg_lo:[0,1,0] neg_hi:[0,1,0]
	v_pk_add_f16 v4, v18, v4
	v_pk_fma_f16 v18, 0x3964, v19, v27 op_sel:[0,0,1] op_sel_hi:[0,1,0]
	v_pk_mul_f16 v27, 0x3722, v29 op_sel_hi:[0,1]
	v_mul_f16_e32 v43, 0xb836, v43
	v_pk_add_f16 v17, v22, v17
	v_pk_fma_f16 v22, 0xba62, v24, v26 op_sel:[0,0,1] op_sel_hi:[0,1,0] neg_lo:[0,1,0] neg_hi:[0,1,0]
	v_pk_add_f16 v4, v18, v4
	v_pk_fma_f16 v18, 0xba62, v24, v26 op_sel:[0,0,1] op_sel_hi:[0,1,0]
	v_fmac_f16_e32 v82, 0x2de8, v30
	v_mul_f16_e32 v39, 0xb836, v5
	v_pk_add_f16 v17, v22, v17
	v_pk_fma_f16 v22, 0x3b29, v16, v27 op_sel:[0,0,1] op_sel_hi:[0,1,0] neg_lo:[0,1,0] neg_hi:[0,1,0]
	v_pk_mul_f16 v26, 0xb461, v30 op_sel_hi:[0,1]
	v_pk_add_f16 v4, v18, v4
	v_pk_fma_f16 v16, 0x3b29, v16, v27 op_sel:[0,0,1] op_sel_hi:[0,1,0]
	v_bfi_b32 v103, 0xffff, v101, v99
	v_pk_fma_f16 v104, 0x35c8b1e1, v5, v100 op_sel:[0,0,1] op_sel_hi:[1,1,0]
	v_add_f16_e32 v67, v68, v88
	v_fma_f16 v68, v30, 0xbacd, -v43
	v_mul_f16_e32 v44, 0xb1e1, v44
	v_add_f16_e32 v61, v82, v62
	v_pk_mul_f16 v62, 0x35c8b1e1, v5
	v_pk_add_f16 v17, v22, v17
	v_pk_fma_f16 v22, 0xbbb2, v25, v26 op_sel:[0,0,1] op_sel_hi:[0,1,0] neg_lo:[0,1,0] neg_hi:[0,1,0]
	v_pk_mul_f16 v27, 0x2de8, v31 op_sel_hi:[0,1]
	v_pk_add_f16 v4, v16, v4
	v_pk_fma_f16 v16, 0xbbb2, v25, v26 op_sel:[0,0,1] op_sel_hi:[0,1,0]
	v_bfi_b32 v26, 0xffff, v39, v13
	v_pk_add_f16 v84, v103, v84
	v_bfi_b32 v103, 0xffff, v104, v105
	v_add_f16_e32 v65, v68, v67
	v_fma_f16 v64, v31, 0xbbdd, -v44
	v_fmac_f16_e32 v43, 0xbacd, v30
	v_pk_add_f16 v17, v22, v17
	v_pk_fma_f16 v22, 0x3bf7, v5, v27 op_sel:[0,0,1] op_sel_hi:[0,1,0] neg_lo:[0,1,0] neg_hi:[0,1,0]
	v_pk_add_f16 v4, v16, v4
	v_pk_fma_f16 v5, 0x3bf7, v5, v27 op_sel:[0,0,1] op_sel_hi:[0,1,0]
	v_pk_add_f16 v16, v81, v26 neg_lo:[0,1] neg_hi:[0,1]
	v_pk_add_f16 v13, v101, v13
	v_pack_b32_f16 v26, v63, v100
	v_bfi_b32 v27, 0xffff, v40, v62
	v_pk_add_f16 v84, v103, v84
	v_add_f16_e32 v64, v64, v65
	v_fmac_f16_e32 v87, 0xbacd, v31
	v_add_f16_e32 v12, v43, v12
	v_fmac_f16_e32 v44, 0xbbdd, v31
	v_pk_add_f16 v4, v5, v4
	v_bfi_b32 v5, 0xffff, v16, v13
	v_pk_add_f16 v13, v26, v27
	v_lshl_add_u32 v59, v0, 6, v20
	v_pack_b32_f16 v28, v50, v49
	v_pk_add_f16 v17, v22, v17
	v_add_f16_e32 v47, v112, v47
	v_add_f16_e32 v61, v87, v61
	;; [unrolled: 1-line block ×3, first 2 shown]
	v_alignbit_b32 v23, v58, v84, 16
	v_pack_b32_f16 v19, v64, v84
	v_pk_add_f16 v5, v5, v13
	v_pack_b32_f16 v24, v55, v51
	v_pack_b32_f16 v18, v54, v53
	;; [unrolled: 1-line block ×4, first 2 shown]
	ds_store_2addr_b32 v59, v6, v28 offset1:7
	v_alignbit_b32 v6, v17, v4, 16
	v_alignbit_b32 v4, v4, v17, 16
	v_pack_b32_f16 v11, v46, v11
	v_pack_b32_f16 v13, v48, v47
	;; [unrolled: 1-line block ×4, first 2 shown]
	v_alignbit_b32 v9, v14, v5, 16
	v_pack_b32_f16 v5, v61, v5
	v_pack_b32_f16 v10, v12, v15
	ds_store_2addr_b32 v59, v19, v23 offset0:1 offset1:2
	ds_store_2addr_b32 v59, v18, v24 offset0:3 offset1:4
	;; [unrolled: 1-line block ×7, first 2 shown]
	ds_store_b32 v59, v10 offset:64
.LBB0_13:
	s_wait_alu 0xfffe
	s_or_b32 exec_lo, exec_lo, s1
	v_add_nc_u16 v24, v0, 0x77
	v_and_b32_e32 v4, 0xff, v0
	v_add_nc_u32_e32 v8, 0x2ca, v0
	v_add_nc_u32_e32 v7, 0x165, v0
	;; [unrolled: 1-line block ×3, first 2 shown]
	v_and_b32_e32 v5, 0xff, v24
	v_mul_lo_u16 v14, 0xf1, v4
	v_add_nc_u32_e32 v4, 0x1dc, v0
	v_and_b32_e32 v11, 0xffff, v8
	v_and_b32_e32 v15, 0xffff, v7
	v_mul_lo_u16 v18, 0xf1, v5
	v_add_nc_u32_e32 v5, 0x253, v0
	v_lshrrev_b16 v19, 12, v14
	v_and_b32_e32 v16, 0xffff, v4
	v_mul_u32_u24_e32 v11, 0xf0f1, v11
	v_lshrrev_b16 v25, 12, v18
	v_and_b32_e32 v10, 0xffff, v5
	v_mul_lo_u16 v12, v19, 17
	v_and_b32_e32 v9, 0xffff, v6
	v_lshrrev_b32_e32 v27, 20, v11
	v_mul_lo_u16 v13, v25, 17
	v_mul_u32_u24_e32 v10, 0xf0f1, v10
	v_sub_nc_u16 v12, v0, v12
	v_mul_u32_u24_e32 v9, 0xf0f1, v9
	global_wb scope:SCOPE_SE
	s_wait_dscnt 0x0
	v_sub_nc_u16 v13, v24, v13
	v_lshrrev_b32_e32 v26, 20, v10
	v_and_b32_e32 v10, 0xff, v12
	v_mul_u32_u24_e32 v12, 0xf0f1, v16
	v_lshrrev_b32_e32 v30, 20, v9
	v_and_b32_e32 v11, 0xff, v13
	v_mul_u32_u24_e32 v13, 0xf0f1, v15
	v_mul_lo_u16 v15, v26, 17
	v_lshrrev_b32_e32 v28, 20, v12
	v_mul_lo_u16 v16, v27, 17
	v_lshlrev_b32_e32 v38, 2, v11
	v_lshrrev_b32_e32 v29, 20, v13
	v_sub_nc_u16 v5, v5, v15
	v_mul_lo_u16 v9, v28, 17
	v_mul_lo_u16 v13, v30, 17
	v_sub_nc_u16 v8, v8, v16
	v_mul_lo_u16 v12, v29, 17
	v_and_b32_e32 v5, 0xffff, v5
	v_sub_nc_u16 v4, v4, v9
	v_sub_nc_u16 v6, v6, v13
	v_and_b32_e32 v8, 0xffff, v8
	v_sub_nc_u16 v7, v7, v12
	v_lshlrev_b32_e32 v31, 2, v5
	v_and_b32_e32 v4, 0xffff, v4
	v_and_b32_e32 v6, 0xffff, v6
	v_lshlrev_b32_e32 v32, 2, v8
	v_and_b32_e32 v5, 0xffff, v7
	v_lshlrev_b32_e32 v39, 2, v10
	v_lshlrev_b32_e32 v35, 2, v4
	;; [unrolled: 1-line block ×3, first 2 shown]
	s_barrier_signal -1
	v_lshlrev_b32_e32 v36, 2, v5
	s_barrier_wait -1
	global_inv scope:SCOPE_SE
	s_clause 0x6
	global_load_b32 v33, v31, s[4:5]
	global_load_b32 v34, v32, s[4:5]
	;; [unrolled: 1-line block ×7, first 2 shown]
	v_add_nc_u32_e32 v4, 0xa00, v20
	v_add_nc_u32_e32 v6, 0x600, v20
	;; [unrolled: 1-line block ×4, first 2 shown]
	ds_load_2addr_b32 v[8:9], v20 offset1:119
	ds_load_2addr_b32 v[10:11], v21 offset0:56 offset1:175
	ds_load_2addr_b32 v[12:13], v1 offset0:110 offset1:229
	v_lshrrev_b16 v45, 13, v14
	ds_load_u16 v46, v20 offset:5238
	ds_load_2addr_b32 v[14:15], v4 offset0:74 offset1:193
	ds_load_2addr_b32 v[16:17], v5 offset0:38 offset1:157
	v_lshrrev_b16 v48, 13, v18
	v_and_b32_e32 v49, 0xffff, v19
	ds_load_2addr_b32 v[18:19], v6 offset0:92 offset1:211
	ds_load_2addr_b32 v[22:23], v7 offset0:20 offset1:139
	v_mul_lo_u16 v47, v45, 34
	v_and_b32_e32 v25, 0xffff, v25
	v_mul_lo_u16 v50, v48, 34
	v_mul_u32_u24_e32 v29, 0x88, v29
	v_mul_u32_u24_e32 v28, 0x88, v28
	v_sub_nc_u16 v47, v0, v47
	v_mul_u32_u24_e32 v26, 0x88, v26
	v_sub_nc_u16 v24, v24, v50
	v_mul_u32_u24_e32 v30, 0x88, v30
	v_mul_u32_u24_e32 v49, 0x88, v49
	v_and_b32_e32 v47, 0xff, v47
	v_add3_u32 v29, 0, v29, v36
	v_and_b32_e32 v51, 0xff, v24
	v_mul_u32_u24_e32 v24, 0x88, v25
	v_mul_u32_u24_e32 v25, 0x88, v27
	;; [unrolled: 1-line block ×3, first 2 shown]
	v_add3_u32 v28, 0, v28, v35
	v_add3_u32 v26, 0, v26, v31
	;; [unrolled: 1-line block ×6, first 2 shown]
	v_lshlrev_b32_e32 v39, 2, v50
	v_mul_u32_u24_e32 v49, 6, v51
	global_wb scope:SCOPE_SE
	s_wait_loadcnt_dscnt 0x0
	s_barrier_signal -1
	s_barrier_wait -1
	global_inv scope:SCOPE_SE
	s_mov_b32 s1, exec_lo
	v_pk_mul_f16 v35, v46, v40 op_sel_hi:[0,1]
	v_pk_mul_f16 v36, v41, v16 op_sel:[0,1]
	v_pk_mul_f16 v32, v22, v33 op_sel:[0,1]
	;; [unrolled: 1-line block ×6, first 2 shown]
	s_delay_alu instid0(VALU_DEP_4)
	v_pk_fma_f16 v50, v23, v34, v31 op_sel:[0,0,1] op_sel_hi:[1,1,0] neg_lo:[0,0,1] neg_hi:[0,0,1]
	v_pk_fma_f16 v23, v23, v34, v31 op_sel:[0,0,1] op_sel_hi:[1,0,0]
	v_pk_fma_f16 v31, v22, v33, v32 op_sel:[0,0,1] op_sel_hi:[1,1,0] neg_lo:[0,0,1] neg_hi:[0,0,1]
	v_pk_fma_f16 v22, v22, v33, v32 op_sel:[0,0,1] op_sel_hi:[1,0,0]
	;; [unrolled: 2-line block ×7, first 2 shown]
	v_bfi_b32 v15, 0xffff, v36, v15
	v_bfi_b32 v16, 0xffff, v33, v16
	;; [unrolled: 1-line block ×7, first 2 shown]
	v_pk_add_f16 v15, v8, v15 neg_lo:[0,1] neg_hi:[0,1]
	v_pk_add_f16 v10, v9, v10 neg_lo:[0,1] neg_hi:[0,1]
	;; [unrolled: 1-line block ×7, first 2 shown]
	v_pk_fma_f16 v8, v8, 2.0, v15 op_sel_hi:[1,0,1] neg_lo:[0,0,1] neg_hi:[0,0,1]
	v_pk_fma_f16 v9, v9, 2.0, v10 op_sel_hi:[1,0,1] neg_lo:[0,0,1] neg_hi:[0,0,1]
	;; [unrolled: 1-line block ×7, first 2 shown]
	ds_store_2addr_b32 v27, v8, v15 offset1:17
	ds_store_2addr_b32 v24, v9, v10 offset1:17
	;; [unrolled: 1-line block ×7, first 2 shown]
	v_lshlrev_b32_e32 v18, 2, v49
	global_wb scope:SCOPE_SE
	s_wait_dscnt 0x0
	s_barrier_signal -1
	s_barrier_wait -1
	global_inv scope:SCOPE_SE
	s_clause 0x3
	global_load_b128 v[8:11], v39, s[4:5] offset:68
	global_load_b64 v[16:17], v39, s[4:5] offset:84
	global_load_b128 v[12:15], v18, s[4:5] offset:68
	global_load_b64 v[18:19], v18, s[4:5] offset:84
	ds_load_2addr_b32 v[22:23], v7 offset0:20 offset1:139
	ds_load_2addr_b32 v[24:25], v1 offset0:110 offset1:229
	;; [unrolled: 1-line block ×6, first 2 shown]
	v_and_b32_e32 v34, 0xffff, v45
	v_and_b32_e32 v35, 0xffff, v48
	v_lshlrev_b32_e32 v39, 2, v47
	v_lshlrev_b32_e32 v40, 2, v51
	v_mul_u32_u24_e32 v36, 6, v0
	v_mul_u32_u24_e32 v37, 0x3b8, v34
	;; [unrolled: 1-line block ×3, first 2 shown]
	ds_load_2addr_b32 v[34:35], v20 offset1:119
	global_wb scope:SCOPE_SE
	s_wait_loadcnt_dscnt 0x0
	v_lshlrev_b32_e32 v36, 2, v36
	v_add3_u32 v37, 0, v37, v39
	v_add3_u32 v38, 0, v38, v40
	s_barrier_signal -1
	s_barrier_wait -1
	v_lshrrev_b32_e32 v39, 16, v22
	v_lshrrev_b32_e32 v46, 16, v24
	;; [unrolled: 1-line block ×12, first 2 shown]
	global_inv scope:SCOPE_SE
	v_lshrrev_b32_e32 v51, 16, v34
	v_lshrrev_b32_e32 v52, 16, v35
	;; [unrolled: 1-line block ×14, first 2 shown]
	v_mul_f16_e32 v65, v53, v46
	v_mul_f16_e32 v53, v53, v24
	;; [unrolled: 1-line block ×24, first 2 shown]
	v_fma_f16 v24, v8, v24, -v65
	v_fmac_f16_e32 v53, v8, v46
	v_fma_f16 v8, v9, v26, -v66
	v_fmac_f16_e32 v54, v9, v47
	;; [unrolled: 2-line block ×12, first 2 shown]
	v_add_f16_e32 v19, v24, v16
	v_add_f16_e32 v22, v53, v58
	v_sub_f16_e32 v16, v24, v16
	v_add_f16_e32 v24, v8, v11
	v_add_f16_e32 v25, v54, v57
	v_sub_f16_e32 v23, v53, v58
	v_sub_f16_e32 v8, v8, v11
	v_sub_f16_e32 v11, v54, v57
	v_add_f16_e32 v26, v9, v10
	v_add_f16_e32 v27, v55, v56
	v_sub_f16_e32 v9, v10, v9
	v_sub_f16_e32 v10, v56, v55
	v_add_f16_e32 v28, v17, v18
	v_add_f16_e32 v29, v59, v64
	v_add_f16_e32 v30, v12, v15
	v_add_f16_e32 v31, v60, v63
	v_add_f16_e32 v39, v24, v19
	v_add_f16_e32 v40, v25, v22
	v_sub_f16_e32 v17, v17, v18
	v_sub_f16_e32 v18, v59, v64
	;; [unrolled: 1-line block ×4, first 2 shown]
	v_add_f16_e32 v32, v13, v14
	v_add_f16_e32 v33, v61, v62
	v_sub_f16_e32 v13, v14, v13
	v_sub_f16_e32 v14, v62, v61
	;; [unrolled: 1-line block ×8, first 2 shown]
	v_add_f16_e32 v43, v9, v8
	v_add_f16_e32 v44, v10, v11
	v_sub_f16_e32 v45, v9, v8
	v_sub_f16_e32 v46, v10, v11
	;; [unrolled: 1-line block ×4, first 2 shown]
	v_add_f16_e32 v47, v30, v28
	v_add_f16_e32 v48, v31, v29
	;; [unrolled: 1-line block ×4, first 2 shown]
	v_sub_f16_e32 v9, v16, v9
	v_sub_f16_e32 v10, v23, v10
	;; [unrolled: 1-line block ×8, first 2 shown]
	v_add_f16_e32 v53, v13, v12
	v_add_f16_e32 v54, v14, v15
	v_sub_f16_e32 v55, v13, v12
	v_sub_f16_e32 v56, v14, v15
	;; [unrolled: 1-line block ×4, first 2 shown]
	v_add_f16_e32 v16, v43, v16
	v_add_f16_e32 v23, v44, v23
	v_mul_f16_e32 v19, 0x3a52, v19
	v_mul_f16_e32 v22, 0x3a52, v22
	;; [unrolled: 1-line block ×8, first 2 shown]
	v_add_f16_e32 v32, v32, v47
	v_add_f16_e32 v33, v33, v48
	;; [unrolled: 1-line block ×4, first 2 shown]
	v_sub_f16_e32 v13, v17, v13
	v_sub_f16_e32 v14, v18, v14
	v_add_f16_e32 v17, v53, v17
	v_add_f16_e32 v18, v54, v18
	v_mul_f16_e32 v28, 0x3a52, v28
	v_mul_f16_e32 v29, 0x3a52, v29
	;; [unrolled: 1-line block ×8, first 2 shown]
	v_fmamk_f16 v24, v24, 0x2b26, v19
	v_fmamk_f16 v25, v25, 0x2b26, v22
	v_fma_f16 v39, v41, 0x39e0, -v39
	v_fma_f16 v40, v42, 0x39e0, -v40
	;; [unrolled: 1-line block ×4, first 2 shown]
	v_fmamk_f16 v41, v9, 0x3574, v43
	v_fmamk_f16 v42, v10, 0x3574, v44
	v_fma_f16 v8, v8, 0x3b00, -v43
	v_fma_f16 v11, v11, 0x3b00, -v44
	;; [unrolled: 1-line block ×4, first 2 shown]
	v_add_f16_e32 v35, v32, v35
	v_add_f16_e32 v43, v33, v52
	v_fmamk_f16 v26, v26, 0xbcab, v34
	v_fmamk_f16 v27, v27, 0xbcab, v51
	;; [unrolled: 1-line block ×4, first 2 shown]
	v_fma_f16 v44, v49, 0x39e0, -v47
	v_fma_f16 v45, v50, 0x39e0, -v48
	;; [unrolled: 1-line block ×4, first 2 shown]
	v_fmamk_f16 v46, v13, 0x3574, v53
	v_fmamk_f16 v47, v14, 0x3574, v54
	v_fma_f16 v12, v12, 0x3b00, -v53
	v_fma_f16 v15, v15, 0x3b00, -v54
	;; [unrolled: 1-line block ×4, first 2 shown]
	v_fmac_f16_e32 v41, 0x370e, v16
	v_fmac_f16_e32 v42, 0x370e, v23
	;; [unrolled: 1-line block ×6, first 2 shown]
	v_fmamk_f16 v16, v32, 0xbcab, v35
	v_fmamk_f16 v23, v33, 0xbcab, v43
	v_add_f16_e32 v24, v24, v26
	v_add_f16_e32 v25, v25, v27
	;; [unrolled: 1-line block ×6, first 2 shown]
	v_fmac_f16_e32 v46, 0x370e, v17
	v_fmac_f16_e32 v47, 0x370e, v18
	v_fmac_f16_e32 v12, 0x370e, v17
	v_fmac_f16_e32 v15, 0x370e, v18
	v_fmac_f16_e32 v13, 0x370e, v17
	v_fmac_f16_e32 v14, 0x370e, v18
	v_add_f16_e32 v26, v30, v16
	v_add_f16_e32 v27, v31, v23
	;; [unrolled: 1-line block ×7, first 2 shown]
	v_sub_f16_e32 v29, v25, v41
	v_pack_b32_f16 v17, v34, v51
	v_pack_b32_f16 v18, v35, v43
	v_add_f16_e32 v34, v10, v19
	v_sub_f16_e32 v35, v22, v9
	v_sub_f16_e32 v39, v32, v11
	v_add_f16_e32 v40, v8, v33
	v_add_f16_e32 v11, v11, v32
	v_sub_f16_e32 v8, v33, v8
	v_sub_f16_e32 v10, v19, v10
	v_add_f16_e32 v9, v9, v22
	v_sub_f16_e32 v19, v24, v42
	v_add_f16_e32 v22, v41, v25
	v_add_f16_e32 v24, v47, v26
	v_sub_f16_e32 v25, v27, v46
	v_add_f16_e32 v32, v14, v16
	v_sub_f16_e32 v33, v23, v13
	v_sub_f16_e32 v41, v30, v15
	v_add_f16_e32 v42, v12, v31
	v_add_f16_e32 v15, v15, v30
	v_sub_f16_e32 v12, v31, v12
	v_sub_f16_e32 v14, v16, v14
	v_add_f16_e32 v13, v13, v23
	v_sub_f16_e32 v16, v26, v47
	v_add_f16_e32 v23, v46, v27
	v_pack_b32_f16 v26, v28, v29
	v_pack_b32_f16 v27, v34, v35
	;; [unrolled: 1-line block ×12, first 2 shown]
	ds_store_2addr_b32 v37, v17, v26 offset1:34
	ds_store_2addr_b32 v37, v27, v28 offset0:68 offset1:102
	ds_store_2addr_b32 v37, v8, v9 offset0:136 offset1:170
	ds_store_b32 v37, v10 offset:816
	ds_store_2addr_b32 v38, v18, v11 offset1:34
	ds_store_2addr_b32 v38, v19, v22 offset0:68 offset1:102
	ds_store_2addr_b32 v38, v12, v13 offset0:136 offset1:170
	ds_store_b32 v38, v14 offset:816
	global_wb scope:SCOPE_SE
	s_wait_dscnt 0x0
	s_barrier_signal -1
	s_barrier_wait -1
	global_inv scope:SCOPE_SE
	s_clause 0x3
	global_load_b128 v[8:11], v36, s[4:5] offset:884
	global_load_b64 v[16:17], v36, s[4:5] offset:900
	global_load_b128 v[12:15], v36, s[4:5] offset:3740
	global_load_b64 v[18:19], v36, s[4:5] offset:3756
	ds_load_2addr_b32 v[22:23], v7 offset0:20 offset1:139
	ds_load_2addr_b32 v[24:25], v1 offset0:110 offset1:229
	;; [unrolled: 1-line block ×6, first 2 shown]
	ds_load_2addr_b32 v[34:35], v20 offset1:119
	global_wb scope:SCOPE_SE
	s_wait_loadcnt_dscnt 0x0
	s_barrier_signal -1
	s_barrier_wait -1
	global_inv scope:SCOPE_SE
	v_lshrrev_b32_e32 v36, 16, v22
	v_lshrrev_b32_e32 v37, 16, v25
	;; [unrolled: 1-line block ×26, first 2 shown]
	v_mul_f16_e32 v62, v50, v43
	v_mul_f16_e32 v50, v50, v24
	;; [unrolled: 1-line block ×24, first 2 shown]
	v_fma_f16 v24, v8, v24, -v62
	v_fmac_f16_e32 v50, v8, v43
	v_fma_f16 v8, v9, v26, -v63
	v_fmac_f16_e32 v51, v9, v44
	;; [unrolled: 2-line block ×12, first 2 shown]
	v_add_f16_e32 v19, v24, v16
	v_add_f16_e32 v22, v50, v55
	v_sub_f16_e32 v16, v24, v16
	v_sub_f16_e32 v23, v50, v55
	v_add_f16_e32 v24, v8, v11
	v_add_f16_e32 v25, v51, v54
	v_sub_f16_e32 v8, v8, v11
	v_sub_f16_e32 v11, v51, v54
	;; [unrolled: 4-line block ×3, first 2 shown]
	v_add_f16_e32 v28, v17, v18
	v_add_f16_e32 v29, v56, v61
	;; [unrolled: 1-line block ×4, first 2 shown]
	v_sub_f16_e32 v17, v17, v18
	v_sub_f16_e32 v18, v56, v61
	v_sub_f16_e32 v12, v12, v15
	v_sub_f16_e32 v15, v57, v60
	v_add_f16_e32 v32, v13, v14
	v_add_f16_e32 v33, v58, v59
	v_sub_f16_e32 v13, v14, v13
	v_sub_f16_e32 v14, v59, v58
	v_add_f16_e32 v36, v24, v19
	v_add_f16_e32 v37, v25, v22
	v_sub_f16_e32 v38, v24, v19
	v_sub_f16_e32 v39, v25, v22
	;; [unrolled: 1-line block ×6, first 2 shown]
	v_add_f16_e32 v40, v9, v8
	v_add_f16_e32 v41, v10, v11
	v_sub_f16_e32 v42, v9, v8
	v_sub_f16_e32 v43, v10, v11
	;; [unrolled: 1-line block ×4, first 2 shown]
	v_add_f16_e32 v44, v30, v28
	v_add_f16_e32 v45, v31, v29
	v_sub_f16_e32 v9, v16, v9
	v_sub_f16_e32 v10, v23, v10
	;; [unrolled: 1-line block ×8, first 2 shown]
	v_add_f16_e32 v50, v13, v12
	v_add_f16_e32 v51, v14, v15
	v_sub_f16_e32 v52, v13, v12
	v_sub_f16_e32 v53, v14, v15
	;; [unrolled: 1-line block ×4, first 2 shown]
	v_add_f16_e32 v26, v26, v36
	v_add_f16_e32 v27, v27, v37
	;; [unrolled: 1-line block ×4, first 2 shown]
	v_mul_f16_e32 v19, 0x3a52, v19
	v_mul_f16_e32 v22, 0x3a52, v22
	;; [unrolled: 1-line block ×8, first 2 shown]
	v_add_f16_e32 v32, v32, v44
	v_add_f16_e32 v33, v33, v45
	v_sub_f16_e32 v13, v17, v13
	v_sub_f16_e32 v14, v18, v14
	v_add_f16_e32 v17, v50, v17
	v_add_f16_e32 v18, v51, v18
	v_mul_f16_e32 v28, 0x3a52, v28
	v_mul_f16_e32 v29, 0x3a52, v29
	;; [unrolled: 1-line block ×7, first 2 shown]
	v_add_f16_e32 v34, v26, v34
	v_add_f16_e32 v48, v27, v48
	v_fmamk_f16 v24, v24, 0x2b26, v19
	v_fmamk_f16 v25, v25, 0x2b26, v22
	v_fma_f16 v36, v38, 0x39e0, -v36
	v_fma_f16 v37, v39, 0x39e0, -v37
	;; [unrolled: 1-line block ×4, first 2 shown]
	v_fmamk_f16 v38, v9, 0x3574, v40
	v_fmamk_f16 v39, v10, 0x3574, v41
	v_fma_f16 v8, v8, 0x3b00, -v40
	v_fma_f16 v11, v11, 0x3b00, -v41
	;; [unrolled: 1-line block ×4, first 2 shown]
	v_add_f16_e32 v35, v32, v35
	v_add_f16_e32 v40, v33, v49
	v_mul_f16_e32 v45, 0x2b26, v31
	v_fmamk_f16 v30, v30, 0x2b26, v28
	v_fmamk_f16 v31, v31, 0x2b26, v29
	v_fma_f16 v41, v46, 0x39e0, -v44
	v_fmamk_f16 v43, v13, 0x3574, v50
	v_fmamk_f16 v44, v14, 0x3574, v51
	v_fma_f16 v12, v12, 0x3b00, -v50
	v_fma_f16 v15, v15, 0x3b00, -v51
	v_fma_f16 v13, v13, 0xb574, -v52
	v_fma_f16 v14, v14, 0xb574, -v53
	v_fmamk_f16 v26, v26, 0xbcab, v34
	v_fmamk_f16 v27, v27, 0xbcab, v48
	v_fmac_f16_e32 v38, 0x370e, v16
	v_fmac_f16_e32 v39, 0x370e, v23
	v_fmac_f16_e32 v8, 0x370e, v16
	v_fmac_f16_e32 v11, 0x370e, v23
	v_fmac_f16_e32 v9, 0x370e, v16
	v_fmac_f16_e32 v10, 0x370e, v23
	v_fmamk_f16 v16, v32, 0xbcab, v35
	v_fmamk_f16 v23, v33, 0xbcab, v40
	v_fma_f16 v42, v47, 0x39e0, -v45
	v_fma_f16 v28, v46, 0xb9e0, -v28
	v_fma_f16 v29, v47, 0xb9e0, -v29
	v_fmac_f16_e32 v43, 0x370e, v17
	v_fmac_f16_e32 v44, 0x370e, v18
	;; [unrolled: 1-line block ×6, first 2 shown]
	v_pack_b32_f16 v17, v34, v48
	v_pack_b32_f16 v18, v35, v40
	v_add_f16_e32 v24, v24, v26
	v_add_f16_e32 v25, v25, v27
	;; [unrolled: 1-line block ×12, first 2 shown]
	ds_store_2addr_b32 v20, v17, v18 offset1:119
	v_add_f16_e32 v17, v39, v24
	v_sub_f16_e32 v18, v25, v38
	v_add_f16_e32 v28, v10, v19
	v_sub_f16_e32 v29, v22, v9
	v_sub_f16_e32 v34, v32, v11
	v_add_f16_e32 v35, v8, v33
	v_add_f16_e32 v11, v11, v32
	v_sub_f16_e32 v8, v33, v8
	v_sub_f16_e32 v10, v19, v10
	v_add_f16_e32 v9, v9, v22
	v_sub_f16_e32 v19, v24, v39
	v_add_f16_e32 v22, v38, v25
	v_add_f16_e32 v24, v44, v26
	v_sub_f16_e32 v25, v27, v43
	v_add_f16_e32 v32, v14, v16
	v_sub_f16_e32 v33, v23, v13
	v_sub_f16_e32 v36, v30, v15
	v_add_f16_e32 v37, v12, v31
	v_add_f16_e32 v15, v15, v30
	v_sub_f16_e32 v12, v31, v12
	v_sub_f16_e32 v14, v16, v14
	v_add_f16_e32 v13, v13, v23
	v_sub_f16_e32 v16, v26, v44
	v_add_f16_e32 v23, v43, v27
	v_pack_b32_f16 v17, v17, v18
	v_pack_b32_f16 v8, v11, v8
	;; [unrolled: 1-line block ×12, first 2 shown]
	ds_store_2addr_b32 v1, v17, v11 offset0:110 offset1:229
	ds_store_2addr_b32 v6, v18, v19 offset0:92 offset1:211
	;; [unrolled: 1-line block ×6, first 2 shown]
	global_wb scope:SCOPE_SE
	s_wait_dscnt 0x0
	s_barrier_signal -1
	s_barrier_wait -1
	global_inv scope:SCOPE_SE
	ds_load_b32 v10, v20
	v_lshlrev_b32_e32 v1, 2, v0
                                        ; implicit-def: $vgpr9
                                        ; implicit-def: $vgpr8
                                        ; implicit-def: $vgpr7
                                        ; implicit-def: $vgpr4_vgpr5
	s_delay_alu instid0(VALU_DEP_1)
	v_sub_nc_u32_e32 v6, 0, v1
	v_cmpx_ne_u32_e32 0, v0
	s_wait_alu 0xfffe
	s_xor_b32 s1, exec_lo, s1
	s_cbranch_execz .LBB0_15
; %bb.14:
	v_mov_b32_e32 v1, 0
	s_delay_alu instid0(VALU_DEP_1) | instskip(NEXT) | instid1(VALU_DEP_1)
	v_lshlrev_b64_e32 v[4:5], 2, v[0:1]
	v_add_co_u32 v4, s0, s4, v4
	s_wait_alu 0xf1ff
	s_delay_alu instid0(VALU_DEP_2)
	v_add_co_ci_u32_e64 v5, s0, s5, v5, s0
	global_load_b32 v4, v[4:5], off offset:6596
	ds_load_b32 v5, v6 offset:6664
	s_wait_dscnt 0x0
	v_pk_add_f16 v7, v10, v5 neg_lo:[0,1] neg_hi:[0,1]
	v_pk_add_f16 v5, v5, v10
	s_delay_alu instid0(VALU_DEP_1) | instskip(SKIP_1) | instid1(VALU_DEP_2)
	v_bfi_b32 v8, 0xffff, v7, v5
	v_bfi_b32 v5, 0xffff, v5, v7
	v_pk_mul_f16 v8, v8, 0.5 op_sel_hi:[1,0]
	s_delay_alu instid0(VALU_DEP_2) | instskip(SKIP_1) | instid1(VALU_DEP_2)
	v_pk_mul_f16 v9, v5, 0.5 op_sel_hi:[1,0]
	s_wait_loadcnt 0x0
	v_pk_mul_f16 v7, v4, v8 op_sel:[1,0]
	v_pk_mul_f16 v4, v4, v8 op_sel_hi:[0,1]
	s_delay_alu instid0(VALU_DEP_3) | instskip(NEXT) | instid1(VALU_DEP_3)
	v_lshrrev_b32_e32 v8, 16, v9
	v_pk_fma_f16 v5, v5, 0.5, v7 op_sel_hi:[1,0,1]
	v_lshrrev_b32_e32 v10, 16, v7
	v_sub_f16_e32 v7, v9, v7
	v_lshrrev_b32_e32 v9, 16, v4
	s_delay_alu instid0(VALU_DEP_4) | instskip(SKIP_2) | instid1(VALU_DEP_4)
	v_pk_add_f16 v11, v5, v4 op_sel:[0,1] op_sel_hi:[1,0]
	v_pk_add_f16 v5, v5, v4 op_sel:[0,1] op_sel_hi:[1,0] neg_lo:[0,1] neg_hi:[0,1]
	v_sub_f16_e32 v10, v10, v8
	v_sub_f16_e32 v8, v7, v9
	s_delay_alu instid0(VALU_DEP_3) | instskip(NEXT) | instid1(VALU_DEP_3)
	v_bfi_b32 v9, 0xffff, v11, v5
	v_sub_f16_e32 v7, v10, v4
	v_dual_mov_b32 v5, v1 :: v_dual_mov_b32 v4, v0
                                        ; implicit-def: $vgpr10
.LBB0_15:
	s_wait_alu 0xfffe
	s_and_not1_saveexec_b32 s0, s1
	s_cbranch_execz .LBB0_17
; %bb.16:
	v_mov_b32_e32 v7, 0
	s_wait_dscnt 0x0
	s_wait_alu 0xfffe
	v_alignbit_b32 v4, s0, v10, 16
	v_lshrrev_b32_e32 v5, 16, v10
	s_delay_alu instid0(VALU_DEP_2) | instskip(NEXT) | instid1(VALU_DEP_2)
	v_pk_add_f16 v9, v4, v10
	v_sub_f16_e32 v8, v10, v5
	v_mov_b32_e32 v4, 0
	ds_load_u16 v1, v7 offset:3334
	v_mov_b32_e32 v5, 0
	v_pack_b32_f16 v9, v9, 0
	s_wait_dscnt 0x0
	v_xor_b32_e32 v1, 0x8000, v1
	ds_store_b16 v7, v1 offset:3334
.LBB0_17:
	s_wait_alu 0xfffe
	s_or_b32 exec_lo, exec_lo, s0
	v_lshlrev_b64_e32 v[4:5], 2, v[4:5]
	s_add_nc_u64 s[0:1], s[4:5], 0x19c4
	s_wait_dscnt 0x0
	s_wait_alu 0xfffe
	s_delay_alu instid0(VALU_DEP_1)
	v_add_co_u32 v10, s0, s0, v4
	s_wait_alu 0xf1ff
	v_add_co_ci_u32_e64 v11, s0, s1, v5, s0
	s_clause 0x4
	global_load_b32 v1, v[10:11], off offset:476
	global_load_b32 v12, v[10:11], off offset:952
	;; [unrolled: 1-line block ×5, first 2 shown]
	ds_store_b16 v6, v7 offset:6666
	ds_store_b32 v20, v9
	ds_store_b16 v6, v8 offset:6664
	ds_load_b32 v7, v20 offset:476
	ds_load_b32 v8, v6 offset:6188
	global_load_b32 v9, v[10:11], off offset:2856
	s_wait_dscnt 0x0
	v_pk_add_f16 v10, v7, v8 neg_lo:[0,1] neg_hi:[0,1]
	v_pk_add_f16 v7, v7, v8
	s_delay_alu instid0(VALU_DEP_1) | instskip(SKIP_1) | instid1(VALU_DEP_2)
	v_bfi_b32 v8, 0xffff, v10, v7
	v_bfi_b32 v7, 0xffff, v7, v10
	v_pk_mul_f16 v8, v8, 0.5 op_sel_hi:[1,0]
	s_delay_alu instid0(VALU_DEP_2) | instskip(NEXT) | instid1(VALU_DEP_1)
	v_pk_mul_f16 v10, v7, 0.5 op_sel_hi:[1,0]
	v_lshrrev_b32_e32 v16, 16, v10
	s_wait_loadcnt 0x5
	s_delay_alu instid0(VALU_DEP_3) | instskip(SKIP_1) | instid1(VALU_DEP_2)
	v_pk_mul_f16 v11, v1, v8 op_sel:[1,0]
	v_pk_mul_f16 v1, v1, v8 op_sel_hi:[0,1]
	v_lshrrev_b32_e32 v8, 16, v11
	v_pk_fma_f16 v7, v7, 0.5, v11 op_sel_hi:[1,0,1]
	v_sub_f16_e32 v10, v10, v11
	s_delay_alu instid0(VALU_DEP_3) | instskip(NEXT) | instid1(VALU_DEP_3)
	v_sub_f16_e32 v8, v8, v16
	v_pk_add_f16 v11, v7, v1 op_sel:[0,1] op_sel_hi:[1,0]
	v_pk_add_f16 v7, v7, v1 op_sel:[0,1] op_sel_hi:[1,0] neg_lo:[0,1] neg_hi:[0,1]
	v_lshrrev_b32_e32 v16, 16, v1
	s_delay_alu instid0(VALU_DEP_4) | instskip(NEXT) | instid1(VALU_DEP_3)
	v_sub_f16_e32 v1, v8, v1
	v_bfi_b32 v7, 0xffff, v11, v7
	s_delay_alu instid0(VALU_DEP_3)
	v_sub_f16_e32 v8, v10, v16
	ds_store_b16 v6, v1 offset:6190
	ds_store_b32 v20, v7 offset:476
	ds_store_b16 v6, v8 offset:6188
	ds_load_b32 v1, v20 offset:952
	ds_load_b32 v7, v6 offset:5712
	s_wait_dscnt 0x0
	v_pk_add_f16 v8, v1, v7 neg_lo:[0,1] neg_hi:[0,1]
	v_pk_add_f16 v1, v1, v7
	s_delay_alu instid0(VALU_DEP_1) | instskip(SKIP_1) | instid1(VALU_DEP_2)
	v_bfi_b32 v7, 0xffff, v8, v1
	v_bfi_b32 v1, 0xffff, v1, v8
	v_pk_mul_f16 v7, v7, 0.5 op_sel_hi:[1,0]
	s_delay_alu instid0(VALU_DEP_2) | instskip(SKIP_1) | instid1(VALU_DEP_2)
	v_pk_mul_f16 v8, v1, 0.5 op_sel_hi:[1,0]
	s_wait_loadcnt 0x4
	v_pk_mul_f16 v10, v12, v7 op_sel:[1,0]
	v_pk_mul_f16 v7, v12, v7 op_sel_hi:[0,1]
	s_delay_alu instid0(VALU_DEP_3) | instskip(NEXT) | instid1(VALU_DEP_3)
	v_lshrrev_b32_e32 v11, 16, v8
	v_lshrrev_b32_e32 v12, 16, v10
	v_pk_fma_f16 v1, v1, 0.5, v10 op_sel_hi:[1,0,1]
	v_sub_f16_e32 v8, v8, v10
	s_delay_alu instid0(VALU_DEP_3) | instskip(NEXT) | instid1(VALU_DEP_3)
	v_sub_f16_e32 v11, v12, v11
	v_pk_add_f16 v10, v1, v7 op_sel:[0,1] op_sel_hi:[1,0]
	v_pk_add_f16 v1, v1, v7 op_sel:[0,1] op_sel_hi:[1,0] neg_lo:[0,1] neg_hi:[0,1]
	v_lshrrev_b32_e32 v12, 16, v7
	s_delay_alu instid0(VALU_DEP_4) | instskip(NEXT) | instid1(VALU_DEP_3)
	v_sub_f16_e32 v7, v11, v7
	v_bfi_b32 v1, 0xffff, v10, v1
	s_delay_alu instid0(VALU_DEP_3)
	v_sub_f16_e32 v8, v8, v12
	ds_store_b16 v6, v7 offset:5714
	ds_store_b32 v20, v1 offset:952
	ds_store_b16 v6, v8 offset:5712
	ds_load_b32 v1, v20 offset:1428
	ds_load_b32 v7, v6 offset:5236
	s_wait_dscnt 0x0
	v_pk_add_f16 v8, v1, v7 neg_lo:[0,1] neg_hi:[0,1]
	v_pk_add_f16 v1, v1, v7
	s_delay_alu instid0(VALU_DEP_1) | instskip(SKIP_1) | instid1(VALU_DEP_2)
	v_bfi_b32 v7, 0xffff, v8, v1
	v_bfi_b32 v1, 0xffff, v1, v8
	v_pk_mul_f16 v7, v7, 0.5 op_sel_hi:[1,0]
	s_delay_alu instid0(VALU_DEP_2) | instskip(SKIP_1) | instid1(VALU_DEP_2)
	v_pk_mul_f16 v8, v1, 0.5 op_sel_hi:[1,0]
	s_wait_loadcnt 0x3
	v_pk_mul_f16 v10, v13, v7 op_sel:[1,0]
	s_delay_alu instid0(VALU_DEP_2) | instskip(SKIP_1) | instid1(VALU_DEP_3)
	v_lshrrev_b32_e32 v11, 16, v8
	v_pk_mul_f16 v7, v13, v7 op_sel_hi:[0,1]
	v_lshrrev_b32_e32 v12, 16, v10
	v_pk_fma_f16 v1, v1, 0.5, v10 op_sel_hi:[1,0,1]
	v_sub_f16_e32 v8, v8, v10
	s_delay_alu instid0(VALU_DEP_3) | instskip(NEXT) | instid1(VALU_DEP_3)
	v_sub_f16_e32 v11, v12, v11
	v_pk_add_f16 v10, v1, v7 op_sel:[0,1] op_sel_hi:[1,0]
	v_pk_add_f16 v1, v1, v7 op_sel:[0,1] op_sel_hi:[1,0] neg_lo:[0,1] neg_hi:[0,1]
	v_lshrrev_b32_e32 v12, 16, v7
	s_delay_alu instid0(VALU_DEP_4) | instskip(NEXT) | instid1(VALU_DEP_3)
	v_sub_f16_e32 v7, v11, v7
	v_bfi_b32 v1, 0xffff, v10, v1
	s_delay_alu instid0(VALU_DEP_3)
	v_sub_f16_e32 v8, v8, v12
	ds_store_b16 v6, v7 offset:5238
	ds_store_b32 v20, v1 offset:1428
	ds_store_b16 v6, v8 offset:5236
	ds_load_b32 v1, v20 offset:1904
	ds_load_b32 v7, v6 offset:4760
	s_wait_dscnt 0x0
	v_pk_add_f16 v8, v1, v7 neg_lo:[0,1] neg_hi:[0,1]
	v_pk_add_f16 v1, v1, v7
	s_delay_alu instid0(VALU_DEP_1) | instskip(SKIP_1) | instid1(VALU_DEP_2)
	v_bfi_b32 v7, 0xffff, v8, v1
	v_bfi_b32 v1, 0xffff, v1, v8
	v_pk_mul_f16 v7, v7, 0.5 op_sel_hi:[1,0]
	s_delay_alu instid0(VALU_DEP_2) | instskip(SKIP_1) | instid1(VALU_DEP_2)
	v_pk_mul_f16 v8, v1, 0.5 op_sel_hi:[1,0]
	s_wait_loadcnt 0x2
	v_pk_mul_f16 v10, v14, v7 op_sel:[1,0]
	s_delay_alu instid0(VALU_DEP_2) | instskip(SKIP_1) | instid1(VALU_DEP_3)
	v_lshrrev_b32_e32 v11, 16, v8
	v_pk_mul_f16 v7, v14, v7 op_sel_hi:[0,1]
	v_lshrrev_b32_e32 v12, 16, v10
	v_pk_fma_f16 v1, v1, 0.5, v10 op_sel_hi:[1,0,1]
	v_sub_f16_e32 v8, v8, v10
	s_delay_alu instid0(VALU_DEP_3) | instskip(NEXT) | instid1(VALU_DEP_3)
	v_sub_f16_e32 v11, v12, v11
	v_pk_add_f16 v10, v1, v7 op_sel:[0,1] op_sel_hi:[1,0]
	v_pk_add_f16 v1, v1, v7 op_sel:[0,1] op_sel_hi:[1,0] neg_lo:[0,1] neg_hi:[0,1]
	v_lshrrev_b32_e32 v12, 16, v7
	s_delay_alu instid0(VALU_DEP_4) | instskip(NEXT) | instid1(VALU_DEP_3)
	v_sub_f16_e32 v7, v11, v7
	v_bfi_b32 v1, 0xffff, v10, v1
	s_delay_alu instid0(VALU_DEP_3)
	v_sub_f16_e32 v8, v8, v12
	ds_store_b16 v6, v7 offset:4762
	ds_store_b32 v20, v1 offset:1904
	ds_store_b16 v6, v8 offset:4760
	ds_load_b32 v1, v20 offset:2380
	ds_load_b32 v7, v6 offset:4284
	s_wait_dscnt 0x0
	v_pk_add_f16 v8, v1, v7 neg_lo:[0,1] neg_hi:[0,1]
	v_pk_add_f16 v1, v1, v7
	s_delay_alu instid0(VALU_DEP_1) | instskip(SKIP_1) | instid1(VALU_DEP_2)
	v_bfi_b32 v7, 0xffff, v8, v1
	v_bfi_b32 v1, 0xffff, v1, v8
	v_pk_mul_f16 v7, v7, 0.5 op_sel_hi:[1,0]
	s_delay_alu instid0(VALU_DEP_2) | instskip(SKIP_1) | instid1(VALU_DEP_2)
	v_pk_mul_f16 v1, v1, 0.5 op_sel_hi:[1,0]
	s_wait_loadcnt 0x1
	v_pk_mul_f16 v10, v15, v7 op_sel_hi:[0,1]
	s_delay_alu instid0(VALU_DEP_2) | instskip(SKIP_2) | instid1(VALU_DEP_3)
	v_pk_fma_f16 v8, v15, v7, v1 op_sel:[1,0,0]
	v_pk_fma_f16 v11, v15, v7, v1 op_sel:[1,0,0] neg_lo:[1,0,0] neg_hi:[1,0,0]
	v_pk_fma_f16 v1, v15, v7, v1 op_sel:[1,0,0] neg_lo:[0,0,1] neg_hi:[0,0,1]
	v_pk_add_f16 v7, v8, v10 op_sel:[0,1] op_sel_hi:[1,0]
	v_pk_add_f16 v8, v8, v10 op_sel:[0,1] op_sel_hi:[1,0] neg_lo:[0,1] neg_hi:[0,1]
	s_delay_alu instid0(VALU_DEP_4) | instskip(NEXT) | instid1(VALU_DEP_4)
	v_pk_add_f16 v11, v11, v10 op_sel:[0,1] op_sel_hi:[1,0] neg_lo:[0,1] neg_hi:[0,1]
	v_pk_add_f16 v1, v1, v10 op_sel:[0,1] op_sel_hi:[1,0] neg_lo:[0,1] neg_hi:[0,1]
	s_delay_alu instid0(VALU_DEP_3) | instskip(NEXT) | instid1(VALU_DEP_2)
	v_bfi_b32 v7, 0xffff, v7, v8
	v_bfi_b32 v1, 0xffff, v11, v1
	ds_store_b32 v20, v7 offset:2380
	ds_store_b32 v6, v1 offset:4284
	ds_load_b32 v1, v20 offset:2856
	ds_load_b32 v7, v6 offset:3808
	s_wait_dscnt 0x0
	v_pk_add_f16 v8, v1, v7 neg_lo:[0,1] neg_hi:[0,1]
	v_pk_add_f16 v1, v1, v7
	s_delay_alu instid0(VALU_DEP_1) | instskip(SKIP_1) | instid1(VALU_DEP_2)
	v_bfi_b32 v7, 0xffff, v8, v1
	v_bfi_b32 v1, 0xffff, v1, v8
	v_pk_mul_f16 v7, v7, 0.5 op_sel_hi:[1,0]
	s_delay_alu instid0(VALU_DEP_2) | instskip(SKIP_1) | instid1(VALU_DEP_2)
	v_pk_mul_f16 v1, v1, 0.5 op_sel_hi:[1,0]
	s_wait_loadcnt 0x0
	v_pk_mul_f16 v10, v9, v7 op_sel_hi:[0,1]
	s_delay_alu instid0(VALU_DEP_2) | instskip(SKIP_2) | instid1(VALU_DEP_3)
	v_pk_fma_f16 v8, v9, v7, v1 op_sel:[1,0,0]
	v_pk_fma_f16 v11, v9, v7, v1 op_sel:[1,0,0] neg_lo:[1,0,0] neg_hi:[1,0,0]
	v_pk_fma_f16 v1, v9, v7, v1 op_sel:[1,0,0] neg_lo:[0,0,1] neg_hi:[0,0,1]
	v_pk_add_f16 v7, v8, v10 op_sel:[0,1] op_sel_hi:[1,0]
	v_pk_add_f16 v8, v8, v10 op_sel:[0,1] op_sel_hi:[1,0] neg_lo:[0,1] neg_hi:[0,1]
	s_delay_alu instid0(VALU_DEP_4) | instskip(NEXT) | instid1(VALU_DEP_4)
	v_pk_add_f16 v9, v11, v10 op_sel:[0,1] op_sel_hi:[1,0] neg_lo:[0,1] neg_hi:[0,1]
	v_pk_add_f16 v1, v1, v10 op_sel:[0,1] op_sel_hi:[1,0] neg_lo:[0,1] neg_hi:[0,1]
	s_delay_alu instid0(VALU_DEP_3) | instskip(NEXT) | instid1(VALU_DEP_2)
	v_bfi_b32 v7, 0xffff, v7, v8
	v_bfi_b32 v1, 0xffff, v9, v1
	ds_store_b32 v20, v7 offset:2856
	ds_store_b32 v6, v1 offset:3808
	global_wb scope:SCOPE_SE
	s_wait_dscnt 0x0
	s_barrier_signal -1
	s_barrier_wait -1
	global_inv scope:SCOPE_SE
	s_and_saveexec_b32 s0, vcc_lo
	s_cbranch_execz .LBB0_20
; %bb.18:
	v_add_nc_u32_e32 v14, 0xe00, v20
	v_add_nc_u32_e32 v1, 0x200, v20
	;; [unrolled: 1-line block ×6, first 2 shown]
	ds_load_2addr_b32 v[6:7], v20 offset1:119
	ds_load_2addr_b32 v[8:9], v1 offset0:110 offset1:229
	ds_load_2addr_b32 v[10:11], v10 offset0:92 offset1:211
	;; [unrolled: 1-line block ×6, first 2 shown]
	v_add_co_u32 v1, vcc_lo, s8, v2
	s_wait_alu 0xfffd
	v_add_co_ci_u32_e32 v2, vcc_lo, s9, v3, vcc_lo
	s_delay_alu instid0(VALU_DEP_2) | instskip(SKIP_1) | instid1(VALU_DEP_2)
	v_add_co_u32 v3, vcc_lo, v1, v4
	s_wait_alu 0xfffd
	v_add_co_ci_u32_e32 v4, vcc_lo, v2, v5, vcc_lo
	v_cmp_eq_u32_e32 vcc_lo, 0x76, v0
	s_wait_dscnt 0x6
	s_clause 0x1
	global_store_b32 v[3:4], v6, off
	global_store_b32 v[3:4], v7, off offset:476
	s_wait_dscnt 0x5
	s_clause 0x1
	global_store_b32 v[3:4], v8, off offset:952
	global_store_b32 v[3:4], v9, off offset:1428
	s_wait_dscnt 0x4
	s_clause 0x1
	global_store_b32 v[3:4], v10, off offset:1904
	;; [unrolled: 4-line block ×6, first 2 shown]
	global_store_b32 v[3:4], v19, off offset:6188
	s_and_b32 exec_lo, exec_lo, vcc_lo
	s_cbranch_execz .LBB0_20
; %bb.19:
	v_mov_b32_e32 v0, 0
	ds_load_b32 v0, v0 offset:6664
	s_wait_dscnt 0x0
	global_store_b32 v[1:2], v0, off offset:6664
.LBB0_20:
	s_nop 0
	s_sendmsg sendmsg(MSG_DEALLOC_VGPRS)
	s_endpgm
	.section	.rodata,"a",@progbits
	.p2align	6, 0x0
	.amdhsa_kernel fft_rtc_fwd_len1666_factors_17_2_7_7_wgs_119_tpt_119_halfLds_half_ip_CI_unitstride_sbrr_R2C_dirReg
		.amdhsa_group_segment_fixed_size 0
		.amdhsa_private_segment_fixed_size 0
		.amdhsa_kernarg_size 88
		.amdhsa_user_sgpr_count 2
		.amdhsa_user_sgpr_dispatch_ptr 0
		.amdhsa_user_sgpr_queue_ptr 0
		.amdhsa_user_sgpr_kernarg_segment_ptr 1
		.amdhsa_user_sgpr_dispatch_id 0
		.amdhsa_user_sgpr_private_segment_size 0
		.amdhsa_wavefront_size32 1
		.amdhsa_uses_dynamic_stack 0
		.amdhsa_enable_private_segment 0
		.amdhsa_system_sgpr_workgroup_id_x 1
		.amdhsa_system_sgpr_workgroup_id_y 0
		.amdhsa_system_sgpr_workgroup_id_z 0
		.amdhsa_system_sgpr_workgroup_info 0
		.amdhsa_system_vgpr_workitem_id 0
		.amdhsa_next_free_vgpr 113
		.amdhsa_next_free_sgpr 32
		.amdhsa_reserve_vcc 1
		.amdhsa_float_round_mode_32 0
		.amdhsa_float_round_mode_16_64 0
		.amdhsa_float_denorm_mode_32 3
		.amdhsa_float_denorm_mode_16_64 3
		.amdhsa_fp16_overflow 0
		.amdhsa_workgroup_processor_mode 1
		.amdhsa_memory_ordered 1
		.amdhsa_forward_progress 0
		.amdhsa_round_robin_scheduling 0
		.amdhsa_exception_fp_ieee_invalid_op 0
		.amdhsa_exception_fp_denorm_src 0
		.amdhsa_exception_fp_ieee_div_zero 0
		.amdhsa_exception_fp_ieee_overflow 0
		.amdhsa_exception_fp_ieee_underflow 0
		.amdhsa_exception_fp_ieee_inexact 0
		.amdhsa_exception_int_div_zero 0
	.end_amdhsa_kernel
	.text
.Lfunc_end0:
	.size	fft_rtc_fwd_len1666_factors_17_2_7_7_wgs_119_tpt_119_halfLds_half_ip_CI_unitstride_sbrr_R2C_dirReg, .Lfunc_end0-fft_rtc_fwd_len1666_factors_17_2_7_7_wgs_119_tpt_119_halfLds_half_ip_CI_unitstride_sbrr_R2C_dirReg
                                        ; -- End function
	.section	.AMDGPU.csdata,"",@progbits
; Kernel info:
; codeLenInByte = 13624
; NumSgprs: 34
; NumVgprs: 113
; ScratchSize: 0
; MemoryBound: 0
; FloatMode: 240
; IeeeMode: 1
; LDSByteSize: 0 bytes/workgroup (compile time only)
; SGPRBlocks: 4
; VGPRBlocks: 14
; NumSGPRsForWavesPerEU: 34
; NumVGPRsForWavesPerEU: 113
; Occupancy: 12
; WaveLimiterHint : 1
; COMPUTE_PGM_RSRC2:SCRATCH_EN: 0
; COMPUTE_PGM_RSRC2:USER_SGPR: 2
; COMPUTE_PGM_RSRC2:TRAP_HANDLER: 0
; COMPUTE_PGM_RSRC2:TGID_X_EN: 1
; COMPUTE_PGM_RSRC2:TGID_Y_EN: 0
; COMPUTE_PGM_RSRC2:TGID_Z_EN: 0
; COMPUTE_PGM_RSRC2:TIDIG_COMP_CNT: 0
	.text
	.p2alignl 7, 3214868480
	.fill 96, 4, 3214868480
	.type	__hip_cuid_936078817ad0fbdd,@object ; @__hip_cuid_936078817ad0fbdd
	.section	.bss,"aw",@nobits
	.globl	__hip_cuid_936078817ad0fbdd
__hip_cuid_936078817ad0fbdd:
	.byte	0                               ; 0x0
	.size	__hip_cuid_936078817ad0fbdd, 1

	.ident	"AMD clang version 19.0.0git (https://github.com/RadeonOpenCompute/llvm-project roc-6.4.0 25133 c7fe45cf4b819c5991fe208aaa96edf142730f1d)"
	.section	".note.GNU-stack","",@progbits
	.addrsig
	.addrsig_sym __hip_cuid_936078817ad0fbdd
	.amdgpu_metadata
---
amdhsa.kernels:
  - .args:
      - .actual_access:  read_only
        .address_space:  global
        .offset:         0
        .size:           8
        .value_kind:     global_buffer
      - .offset:         8
        .size:           8
        .value_kind:     by_value
      - .actual_access:  read_only
        .address_space:  global
        .offset:         16
        .size:           8
        .value_kind:     global_buffer
      - .actual_access:  read_only
        .address_space:  global
        .offset:         24
        .size:           8
        .value_kind:     global_buffer
      - .offset:         32
        .size:           8
        .value_kind:     by_value
      - .actual_access:  read_only
        .address_space:  global
        .offset:         40
        .size:           8
        .value_kind:     global_buffer
      - .actual_access:  read_only
        .address_space:  global
        .offset:         48
        .size:           8
        .value_kind:     global_buffer
      - .offset:         56
        .size:           4
        .value_kind:     by_value
      - .actual_access:  read_only
        .address_space:  global
        .offset:         64
        .size:           8
        .value_kind:     global_buffer
      - .actual_access:  read_only
        .address_space:  global
        .offset:         72
        .size:           8
        .value_kind:     global_buffer
      - .address_space:  global
        .offset:         80
        .size:           8
        .value_kind:     global_buffer
    .group_segment_fixed_size: 0
    .kernarg_segment_align: 8
    .kernarg_segment_size: 88
    .language:       OpenCL C
    .language_version:
      - 2
      - 0
    .max_flat_workgroup_size: 119
    .name:           fft_rtc_fwd_len1666_factors_17_2_7_7_wgs_119_tpt_119_halfLds_half_ip_CI_unitstride_sbrr_R2C_dirReg
    .private_segment_fixed_size: 0
    .sgpr_count:     34
    .sgpr_spill_count: 0
    .symbol:         fft_rtc_fwd_len1666_factors_17_2_7_7_wgs_119_tpt_119_halfLds_half_ip_CI_unitstride_sbrr_R2C_dirReg.kd
    .uniform_work_group_size: 1
    .uses_dynamic_stack: false
    .vgpr_count:     113
    .vgpr_spill_count: 0
    .wavefront_size: 32
    .workgroup_processor_mode: 1
amdhsa.target:   amdgcn-amd-amdhsa--gfx1201
amdhsa.version:
  - 1
  - 2
...

	.end_amdgpu_metadata
